;; amdgpu-corpus repo=ROCm/rocFFT kind=compiled arch=gfx1030 opt=O3
	.text
	.amdgcn_target "amdgcn-amd-amdhsa--gfx1030"
	.amdhsa_code_object_version 6
	.protected	bluestein_single_back_len630_dim1_half_op_CI_CI ; -- Begin function bluestein_single_back_len630_dim1_half_op_CI_CI
	.globl	bluestein_single_back_len630_dim1_half_op_CI_CI
	.p2align	8
	.type	bluestein_single_back_len630_dim1_half_op_CI_CI,@function
bluestein_single_back_len630_dim1_half_op_CI_CI: ; @bluestein_single_back_len630_dim1_half_op_CI_CI
; %bb.0:
	s_load_dwordx4 s[8:11], s[4:5], 0x28
	v_mul_u32_u24_e32 v1, 0x411, v0
	v_mov_b32_e32 v21, 0
	s_mov_b32 s0, exec_lo
	v_lshrrev_b32_e32 v1, 16, v1
	v_add_nc_u32_e32 v20, s6, v1
	s_waitcnt lgkmcnt(0)
	v_cmpx_gt_u64_e64 s[8:9], v[20:21]
	s_cbranch_execz .LBB0_31
; %bb.1:
	s_load_dwordx4 s[0:3], s[4:5], 0x18
	v_mul_lo_u16 v1, v1, 63
	v_sub_nc_u16 v7, v0, v1
	v_and_b32_e32 v55, 0xffff, v7
	v_lshlrev_b32_e32 v47, 2, v55
	s_waitcnt lgkmcnt(0)
	s_load_dwordx4 s[12:15], s[0:1], 0x0
	s_load_dwordx2 s[0:1], s[4:5], 0x0
	s_waitcnt lgkmcnt(0)
	v_mad_u64_u32 v[0:1], null, s14, v20, 0
	v_mad_u64_u32 v[2:3], null, s12, v55, 0
	v_add_co_u32 v16, s6, s0, v47
	s_mul_i32 s7, s13, 0xd2
	s_mul_hi_u32 s9, s12, 0xd2
	v_add_co_ci_u32_e64 v17, null, s1, 0, s6
	v_mad_u64_u32 v[4:5], null, s15, v20, v[1:2]
	s_mul_i32 s6, s12, 0xd2
	s_mul_i32 s14, s13, 0xfffffe9b
	s_add_i32 s7, s9, s7
	s_mul_i32 s8, s12, 0xfffffe9b
	s_clause 0x2
	global_load_dword v54, v47, s[0:1] offset:1680
	global_load_dword v56, v47, s[0:1]
	global_load_dword v53, v47, s[0:1] offset:252
	v_mad_u64_u32 v[5:6], null, s13, v55, v[3:4]
	v_mov_b32_e32 v1, v4
	s_mul_hi_u32 s13, s12, 0xfffffe9b
	s_clause 0x1
	global_load_dword v57, v47, s[0:1] offset:840
	global_load_dword v52, v47, s[0:1] offset:1092
	s_sub_i32 s9, s13, s12
	s_lshl_b64 s[12:13], s[6:7], 2
	v_lshlrev_b64 v[0:1], 2, v[0:1]
	v_mov_b32_e32 v3, v5
	s_add_i32 s9, s9, s14
	global_load_dword v51, v47, s[0:1] offset:1932
	s_lshl_b64 s[14:15], s[8:9], 2
	v_add_nc_u32_e32 v6, 0x400, v47
	v_lshlrev_b64 v[2:3], 2, v[2:3]
	v_add_co_u32 v0, vcc_lo, s10, v0
	v_add_co_ci_u32_e32 v1, vcc_lo, s11, v1, vcc_lo
	v_add_co_u32 v0, vcc_lo, v0, v2
	v_add_co_ci_u32_e32 v1, vcc_lo, v1, v3, vcc_lo
	global_load_dword v8, v[0:1], off
	v_add_co_u32 v0, vcc_lo, v0, s12
	v_add_co_ci_u32_e32 v1, vcc_lo, s13, v1, vcc_lo
	v_add_co_u32 v2, vcc_lo, v0, s12
	v_add_co_ci_u32_e32 v3, vcc_lo, s13, v1, vcc_lo
	s_clause 0x1
	global_load_dword v9, v[0:1], off
	global_load_dword v10, v[2:3], off
	v_add_co_u32 v0, vcc_lo, v2, s14
	v_add_co_ci_u32_e32 v1, vcc_lo, s15, v3, vcc_lo
	v_add_co_u32 v2, vcc_lo, v0, s12
	v_add_co_ci_u32_e32 v3, vcc_lo, s13, v1, vcc_lo
	s_clause 0x1
	global_load_dword v11, v[0:1], off
	global_load_dword v12, v[2:3], off
	v_add_co_u32 v0, vcc_lo, v2, s12
	v_add_co_ci_u32_e32 v1, vcc_lo, s13, v3, vcc_lo
	v_add_co_u32 v2, vcc_lo, v0, s14
	v_add_co_ci_u32_e32 v3, vcc_lo, s15, v1, vcc_lo
	;; [unrolled: 2-line block ×3, first 2 shown]
	global_load_dword v13, v[0:1], off
	s_clause 0x1
	global_load_dword v49, v47, s[0:1] offset:1344
	global_load_dword v50, v47, s[0:1] offset:504
	global_load_dword v2, v[2:3], off
	global_load_dword v3, v[4:5], off
	v_add_co_u32 v0, vcc_lo, v4, s12
	v_add_co_ci_u32_e32 v1, vcc_lo, s13, v5, vcc_lo
	v_add_co_u32 v18, vcc_lo, 0x800, v16
	v_add_co_ci_u32_e32 v19, vcc_lo, 0, v17, vcc_lo
	global_load_dword v4, v[0:1], off
	global_load_dword v48, v[18:19], off offset:136
	s_load_dwordx2 s[6:7], s[4:5], 0x38
	s_load_dwordx4 s[8:11], s[2:3], 0x0
	v_cmp_gt_u16_e32 vcc_lo, 21, v7
	s_waitcnt vmcnt(11)
	v_lshrrev_b32_e32 v5, 16, v8
	v_mul_f16_sdwa v14, v56, v8 dst_sel:DWORD dst_unused:UNUSED_PAD src0_sel:WORD_1 src1_sel:DWORD
	v_mul_f16_sdwa v15, v56, v5 dst_sel:DWORD dst_unused:UNUSED_PAD src0_sel:WORD_1 src1_sel:DWORD
	v_fma_f16 v5, v56, v5, -v14
	s_waitcnt vmcnt(10)
	v_lshrrev_b32_e32 v21, 16, v9
	v_mul_f16_sdwa v22, v57, v9 dst_sel:DWORD dst_unused:UNUSED_PAD src0_sel:WORD_1 src1_sel:DWORD
	v_fmac_f16_e32 v15, v56, v8
	s_waitcnt vmcnt(9)
	v_lshrrev_b32_e32 v14, 16, v10
	v_mul_f16_sdwa v8, v57, v21 dst_sel:DWORD dst_unused:UNUSED_PAD src0_sel:WORD_1 src1_sel:DWORD
	v_fma_f16 v21, v57, v21, -v22
	v_mul_f16_sdwa v22, v54, v10 dst_sel:DWORD dst_unused:UNUSED_PAD src0_sel:WORD_1 src1_sel:DWORD
	v_pack_b32_f16 v5, v15, v5
	v_fmac_f16_e32 v8, v57, v9
	v_mul_f16_sdwa v9, v54, v14 dst_sel:DWORD dst_unused:UNUSED_PAD src0_sel:WORD_1 src1_sel:DWORD
	v_fma_f16 v14, v54, v14, -v22
	s_waitcnt vmcnt(8)
	v_lshrrev_b32_e32 v15, 16, v11
	v_mul_f16_sdwa v23, v53, v11 dst_sel:DWORD dst_unused:UNUSED_PAD src0_sel:WORD_1 src1_sel:DWORD
	v_pack_b32_f16 v8, v8, v21
	v_fmac_f16_e32 v9, v54, v10
	s_waitcnt vmcnt(7)
	v_lshrrev_b32_e32 v21, 16, v12
	v_mul_f16_sdwa v10, v53, v15 dst_sel:DWORD dst_unused:UNUSED_PAD src0_sel:WORD_1 src1_sel:DWORD
	v_fma_f16 v15, v53, v15, -v23
	ds_write_b32 v47, v8 offset:840
	v_pack_b32_f16 v8, v9, v14
	v_mul_f16_sdwa v22, v52, v12 dst_sel:DWORD dst_unused:UNUSED_PAD src0_sel:WORD_1 src1_sel:DWORD
	v_fmac_f16_e32 v10, v53, v11
	v_mul_f16_sdwa v9, v52, v21 dst_sel:DWORD dst_unused:UNUSED_PAD src0_sel:WORD_1 src1_sel:DWORD
	ds_write_b32 v47, v8 offset:1680
	s_waitcnt vmcnt(6)
	v_lshrrev_b32_e32 v11, 16, v13
	v_pack_b32_f16 v8, v10, v15
	v_fma_f16 v14, v52, v21, -v22
	v_mul_f16_sdwa v21, v51, v13 dst_sel:DWORD dst_unused:UNUSED_PAD src0_sel:WORD_1 src1_sel:DWORD
	v_fmac_f16_e32 v9, v52, v12
	v_mul_f16_sdwa v10, v51, v11 dst_sel:DWORD dst_unused:UNUSED_PAD src0_sel:WORD_1 src1_sel:DWORD
	s_waitcnt vmcnt(3)
	v_lshrrev_b32_e32 v12, 16, v2
	v_mul_f16_sdwa v15, v50, v2 dst_sel:DWORD dst_unused:UNUSED_PAD src0_sel:WORD_1 src1_sel:DWORD
	v_fma_f16 v11, v51, v11, -v21
	v_fmac_f16_e32 v10, v51, v13
	s_waitcnt vmcnt(2)
	v_lshrrev_b32_e32 v13, 16, v3
	v_mul_f16_sdwa v21, v50, v12 dst_sel:DWORD dst_unused:UNUSED_PAD src0_sel:WORD_1 src1_sel:DWORD
	v_fma_f16 v12, v50, v12, -v15
	s_waitcnt vmcnt(1)
	v_lshrrev_b32_e32 v22, 16, v4
	v_mul_f16_sdwa v15, v49, v3 dst_sel:DWORD dst_unused:UNUSED_PAD src0_sel:WORD_1 src1_sel:DWORD
	v_mul_f16_sdwa v23, v49, v13 dst_sel:DWORD dst_unused:UNUSED_PAD src0_sel:WORD_1 src1_sel:DWORD
	s_waitcnt vmcnt(0)
	v_mul_f16_sdwa v24, v48, v4 dst_sel:DWORD dst_unused:UNUSED_PAD src0_sel:WORD_1 src1_sel:DWORD
	v_fmac_f16_e32 v21, v50, v2
	v_mul_f16_sdwa v25, v48, v22 dst_sel:DWORD dst_unused:UNUSED_PAD src0_sel:WORD_1 src1_sel:DWORD
	v_fma_f16 v2, v49, v13, -v15
	v_fmac_f16_e32 v23, v49, v3
	v_fma_f16 v3, v48, v22, -v24
	v_fmac_f16_e32 v25, v48, v4
	v_pack_b32_f16 v4, v9, v14
	v_pack_b32_f16 v9, v10, v11
	;; [unrolled: 1-line block ×5, first 2 shown]
	v_add_nc_u32_e32 v11, 0x600, v47
	ds_write2_b32 v47, v5, v8 offset1:63
	ds_write_b32 v47, v10 offset:504
	ds_write2_b32 v6, v4, v2 offset0:17 offset1:80
	ds_write2_b32 v11, v9, v3 offset0:99 offset1:162
	s_and_saveexec_b32 s1, vcc_lo
	s_cbranch_execz .LBB0_3
; %bb.2:
	v_add_co_u32 v0, s0, v0, s14
	v_add_co_ci_u32_e64 v1, s0, s15, v1, s0
	v_add_co_u32 v2, s0, v0, s12
	v_add_co_ci_u32_e64 v3, s0, s13, v1, s0
	;; [unrolled: 2-line block ×3, first 2 shown]
	global_load_dword v0, v[0:1], off
	global_load_dword v1, v[16:17], off offset:756
	global_load_dword v2, v[2:3], off
	global_load_dword v3, v[4:5], off
	s_clause 0x1
	global_load_dword v4, v[16:17], off offset:1596
	global_load_dword v5, v[18:19], off offset:388
	s_waitcnt vmcnt(5)
	v_lshrrev_b32_e32 v7, 16, v0
	s_waitcnt vmcnt(4)
	v_mul_f16_sdwa v8, v1, v0 dst_sel:DWORD dst_unused:UNUSED_PAD src0_sel:WORD_1 src1_sel:DWORD
	s_waitcnt vmcnt(3)
	v_lshrrev_b32_e32 v9, 16, v2
	s_waitcnt vmcnt(2)
	v_lshrrev_b32_e32 v10, 16, v3
	v_mul_f16_sdwa v11, v1, v7 dst_sel:DWORD dst_unused:UNUSED_PAD src0_sel:WORD_1 src1_sel:DWORD
	v_fma_f16 v7, v1, v7, -v8
	s_waitcnt vmcnt(1)
	v_mul_f16_sdwa v8, v4, v2 dst_sel:DWORD dst_unused:UNUSED_PAD src0_sel:WORD_1 src1_sel:DWORD
	v_mul_f16_sdwa v12, v4, v9 dst_sel:DWORD dst_unused:UNUSED_PAD src0_sel:WORD_1 src1_sel:DWORD
	s_waitcnt vmcnt(0)
	v_mul_f16_sdwa v13, v5, v10 dst_sel:DWORD dst_unused:UNUSED_PAD src0_sel:WORD_1 src1_sel:DWORD
	v_mul_f16_sdwa v14, v5, v3 dst_sel:DWORD dst_unused:UNUSED_PAD src0_sel:WORD_1 src1_sel:DWORD
	v_fmac_f16_e32 v11, v1, v0
	v_fma_f16 v0, v4, v9, -v8
	v_fmac_f16_e32 v12, v4, v2
	v_fmac_f16_e32 v13, v5, v3
	v_fma_f16 v1, v5, v10, -v14
	v_pack_b32_f16 v2, v11, v7
	v_add_nc_u32_e32 v3, 0x280, v47
	v_pack_b32_f16 v0, v12, v0
	v_pack_b32_f16 v1, v13, v1
	ds_write2_b32 v3, v2, v0 offset0:29 offset1:239
	ds_write_b32 v47, v1 offset:2436
.LBB0_3:
	s_or_b32 exec_lo, exec_lo, s1
	s_waitcnt lgkmcnt(0)
	s_barrier
	buffer_gl0_inv
	ds_read2_b32 v[8:9], v47 offset1:63
	ds_read2_b32 v[4:5], v47 offset0:126 offset1:210
	ds_read2_b32 v[2:3], v6 offset0:164 offset1:227
	;; [unrolled: 1-line block ×3, first 2 shown]
	ds_read_b32 v11, v47 offset:2184
                                        ; implicit-def: $vgpr10
                                        ; implicit-def: $vgpr1
	s_and_saveexec_b32 s0, vcc_lo
	s_cbranch_execz .LBB0_5
; %bb.4:
	v_add_nc_u32_e32 v0, 0x280, v47
	ds_read2_b32 v[0:1], v0 offset0:29 offset1:239
	ds_read_b32 v10, v47 offset:2436
.LBB0_5:
	s_or_b32 exec_lo, exec_lo, s0
	s_waitcnt lgkmcnt(3)
	v_pk_add_f16 v13, v8, v5
	s_waitcnt lgkmcnt(2)
	v_pk_add_f16 v23, v5, v2
	v_pk_add_f16 v5, v5, v2 neg_lo:[0,1] neg_hi:[0,1]
	v_add_co_u32 v15, s0, 0x7e, v55
	v_add_co_ci_u32_e64 v12, null, 0, 0, s0
	s_waitcnt lgkmcnt(0)
	v_pk_add_f16 v12, v1, v10
	v_pk_add_f16 v22, v1, v0
	v_pk_add_f16 v24, v1, v10 neg_lo:[0,1] neg_hi:[0,1]
	v_pk_fma_f16 v1, v23, 0.5, v8 op_sel_hi:[1,0,1] neg_lo:[1,0,0] neg_hi:[1,0,0]
	v_pk_mul_f16 v5, 0x3aee, v5 op_sel_hi:[0,1]
	v_pk_fma_f16 v12, v12, 0.5, v0 op_sel_hi:[1,0,1] neg_lo:[1,0,0] neg_hi:[1,0,0]
	v_pk_add_f16 v0, v10, v22
	v_mul_lo_u16 v8, v55, 3
	v_mov_b32_e32 v22, 2
	v_pk_add_f16 v23, v1, v5 op_sel:[0,1] op_sel_hi:[1,0]
	v_pk_add_f16 v5, v1, v5 op_sel:[0,1] op_sel_hi:[1,0] neg_lo:[0,1] neg_hi:[0,1]
	v_pk_add_f16 v2, v13, v2
	v_pk_add_f16 v13, v6, v3
	v_lshlrev_b32_sdwa v61, v22, v8 dst_sel:DWORD dst_unused:UNUSED_PAD src0_sel:DWORD src1_sel:WORD_0
	s_load_dwordx2 s[2:3], s[4:5], 0x8
	v_bfi_b32 v8, 0xffff, v23, v5
	v_add_co_u32 v29, null, v55, 63
	s_waitcnt lgkmcnt(0)
	s_barrier
	buffer_gl0_inv
	ds_write2_b32 v61, v2, v8 offset1:1
	v_bfi_b32 v2, 0xffff, v5, v23
	v_pk_add_f16 v5, v6, v3 neg_lo:[0,1] neg_hi:[0,1]
	v_pk_add_f16 v21, v9, v6
	v_pk_add_f16 v25, v4, v7
	v_pk_fma_f16 v8, v13, 0.5, v9 op_sel_hi:[1,0,1] neg_lo:[1,0,0] neg_hi:[1,0,0]
	v_pk_add_f16 v9, v7, v11
	v_pk_add_f16 v7, v7, v11 neg_lo:[0,1] neg_hi:[0,1]
	v_mul_u32_u24_e32 v6, 3, v29
	v_pk_mul_f16 v5, 0x3aee, v5 op_sel_hi:[0,1]
	ds_write_b32 v61, v2 offset:8
	v_pk_fma_f16 v2, v9, 0.5, v4 op_sel_hi:[1,0,1] neg_lo:[1,0,0] neg_hi:[1,0,0]
	v_pk_mul_f16 v4, 0x3aee, v7 op_sel_hi:[0,1]
	v_add_co_u32 v14, null, 0xbd, v55
	v_pk_fma_f16 v10, 0x3aee, v24, v12 op_sel:[0,0,1] op_sel_hi:[0,1,0]
	v_lshlrev_b32_e32 v62, 2, v6
	v_pk_add_f16 v6, v8, v5 op_sel:[0,1] op_sel_hi:[1,0]
	v_pk_add_f16 v5, v8, v5 op_sel:[0,1] op_sel_hi:[1,0] neg_lo:[0,1] neg_hi:[0,1]
	v_mul_u32_u24_e32 v7, 3, v15
	v_pk_add_f16 v8, v2, v4 op_sel:[0,1] op_sel_hi:[1,0]
	v_pk_add_f16 v2, v2, v4 op_sel:[0,1] op_sel_hi:[1,0] neg_lo:[0,1] neg_hi:[0,1]
	v_lshrrev_b32_e32 v1, 16, v10
	v_pk_fma_f16 v12, 0x3aee, v24, v12 op_sel:[0,0,1] op_sel_hi:[0,1,0] neg_lo:[0,1,0] neg_hi:[0,1,0]
	v_pk_add_f16 v3, v21, v3
	v_bfi_b32 v4, 0xffff, v6, v5
	v_lshlrev_b32_e32 v64, 2, v7
	v_mul_u32_u24_e32 v63, 3, v14
	v_bfi_b32 v5, 0xffff, v5, v6
	v_pk_add_f16 v6, v25, v11
	v_bfi_b32 v7, 0xffff, v8, v2
	v_bfi_b32 v2, 0xffff, v2, v8
	ds_write2_b32 v62, v3, v4 offset1:1
	ds_write_b32 v62, v5 offset:8
	ds_write2_b32 v64, v6, v7 offset1:1
	ds_write_b32 v64, v2 offset:8
	s_and_saveexec_b32 s0, vcc_lo
	s_cbranch_execz .LBB0_7
; %bb.6:
	v_lshlrev_b32_e32 v2, 2, v63
	v_perm_b32 v3, v12, v1, 0x5040100
	v_alignbit_b32 v4, v10, v12, 16
	ds_write_b32 v2, v0
	ds_write2_b32 v2, v3, v4 offset0:1 offset1:2
.LBB0_7:
	s_or_b32 exec_lo, exec_lo, s0
	v_add_nc_u32_e32 v8, 0x400, v47
	s_waitcnt lgkmcnt(0)
	s_barrier
	buffer_gl0_inv
	ds_read2_b32 v[4:5], v47 offset1:63
	ds_read2_b32 v[2:3], v47 offset0:126 offset1:210
	ds_read2_b32 v[6:7], v8 offset0:164 offset1:227
	;; [unrolled: 1-line block ×3, first 2 shown]
	ds_read_b32 v13, v47 offset:2184
	s_and_saveexec_b32 s0, vcc_lo
	s_cbranch_execz .LBB0_9
; %bb.8:
	v_add_nc_u32_e32 v0, 0x280, v47
	ds_read_b32 v11, v47 offset:2436
	ds_read2_b32 v[0:1], v0 offset0:29 offset1:239
	s_waitcnt lgkmcnt(1)
	v_lshrrev_b32_e32 v10, 16, v11
	s_waitcnt lgkmcnt(0)
	v_alignbit_b32 v12, v11, v1, 16
.LBB0_9:
	s_or_b32 exec_lo, exec_lo, s0
	v_and_b32_e32 v11, 0xff, v55
	v_and_b32_e32 v30, 0xff, v29
	v_and_b32_e32 v22, 0xff, v15
	s_waitcnt lgkmcnt(3)
	v_lshrrev_b32_e32 v38, 16, v3
	s_waitcnt lgkmcnt(2)
	v_lshrrev_b32_e32 v39, 16, v6
	v_mul_lo_u16 v21, 0xab, v11
	v_mul_lo_u16 v23, 0xab, v30
	;; [unrolled: 1-line block ×3, first 2 shown]
	s_waitcnt lgkmcnt(1)
	v_lshrrev_b32_e32 v41, 16, v8
	v_lshrrev_b32_e32 v42, 16, v7
	v_lshrrev_b16 v31, 9, v21
	v_and_b32_e32 v21, 0xff, v14
	v_lshrrev_b16 v32, 9, v23
	v_lshrrev_b16 v33, 9, v22
	v_lshrrev_b32_e32 v44, 16, v9
	v_mul_lo_u16 v23, v31, 3
	v_mul_lo_u16 v21, 0xab, v21
	;; [unrolled: 1-line block ×3, first 2 shown]
	s_waitcnt lgkmcnt(0)
	v_lshrrev_b32_e32 v45, 16, v13
	v_lshrrev_b32_e32 v46, 16, v12
	v_sub_nc_u16 v23, v55, v23
	v_lshrrev_b16 v58, 9, v21
	v_mul_lo_u16 v21, v33, 3
	v_sub_nc_u16 v22, v29, v22
	v_lshrrev_b32_e32 v37, 16, v4
	v_and_b32_e32 v34, 0xff, v23
	v_mul_lo_u16 v23, v58, 3
	v_sub_nc_u16 v15, v15, v21
	v_and_b32_e32 v35, 0xff, v22
	v_lshrrev_b32_e32 v40, 16, v5
	v_lshlrev_b32_e32 v21, 3, v34
	v_sub_nc_u16 v14, v14, v23
	v_and_b32_e32 v36, 0xff, v15
	v_lshlrev_b32_e32 v15, 3, v35
	v_lshrrev_b32_e32 v43, 16, v2
	global_load_dwordx2 v[27:28], v21, s[2:3]
	v_and_b32_e32 v59, 0xff, v14
	v_lshlrev_b32_e32 v14, 3, v36
	global_load_dwordx2 v[25:26], v15, s[2:3]
	v_lshlrev_b32_e32 v15, 3, v59
	s_clause 0x1
	global_load_dwordx2 v[23:24], v14, s[2:3]
	global_load_dwordx2 v[21:22], v15, s[2:3]
	v_mov_b32_e32 v14, 9
	v_lshrrev_b32_e32 v15, 16, v0
	s_waitcnt vmcnt(0)
	s_barrier
	buffer_gl0_inv
	v_mul_u32_u24_sdwa v31, v31, v14 dst_sel:DWORD dst_unused:UNUSED_PAD src0_sel:WORD_0 src1_sel:DWORD
	v_mul_u32_u24_sdwa v32, v32, v14 dst_sel:DWORD dst_unused:UNUSED_PAD src0_sel:WORD_0 src1_sel:DWORD
	;; [unrolled: 1-line block ×3, first 2 shown]
	v_add_lshl_u32 v67, v31, v34, 2
	v_add_lshl_u32 v66, v32, v35, 2
	v_add_lshl_u32 v65, v33, v36, 2
	v_mul_f16_sdwa v33, v38, v27 dst_sel:DWORD dst_unused:UNUSED_PAD src0_sel:DWORD src1_sel:WORD_1
	v_mul_f16_sdwa v34, v3, v27 dst_sel:DWORD dst_unused:UNUSED_PAD src0_sel:DWORD src1_sel:WORD_1
	;; [unrolled: 1-line block ×8, first 2 shown]
	v_fma_f16 v33, v3, v27, -v33
	v_mul_f16_sdwa v71, v44, v23 dst_sel:DWORD dst_unused:UNUSED_PAD src0_sel:DWORD src1_sel:WORD_1
	v_mul_f16_sdwa v72, v9, v23 dst_sel:DWORD dst_unused:UNUSED_PAD src0_sel:DWORD src1_sel:WORD_1
	;; [unrolled: 1-line block ×8, first 2 shown]
	v_fmac_f16_e32 v34, v38, v27
	v_fma_f16 v6, v6, v28, -v35
	v_fmac_f16_e32 v36, v39, v28
	v_fma_f16 v8, v8, v25, -v60
	;; [unrolled: 2-line block ×7, first 2 shown]
	v_fmac_f16_e32 v31, v10, v22
	v_add_f16_e32 v12, v33, v6
	v_sub_f16_e32 v35, v34, v36
	v_add_f16_e32 v38, v37, v34
	v_add_f16_e32 v34, v34, v36
	;; [unrolled: 1-line block ×7, first 2 shown]
	v_sub_f16_e32 v39, v33, v6
	v_add_f16_e32 v33, v5, v8
	v_sub_f16_e32 v42, v68, v70
	v_add_f16_e32 v44, v40, v68
	;; [unrolled: 2-line block ×3, first 2 shown]
	v_add_f16_e32 v72, v3, v1
	v_add_f16_e32 v75, v32, v31
	v_fma_f16 v4, -0.5, v12, v4
	v_fmac_f16_e32 v37, -0.5, v34
	v_sub_f16_e32 v8, v8, v7
	v_fmac_f16_e32 v5, -0.5, v41
	v_fmac_f16_e32 v40, -0.5, v45
	v_add_f16_e32 v46, v2, v9
	v_sub_f16_e32 v9, v9, v13
	v_fmac_f16_e32 v2, -0.5, v60
	v_fmac_f16_e32 v43, -0.5, v71
	v_sub_f16_e32 v73, v32, v31
	v_sub_f16_e32 v76, v3, v1
	v_add_f16_e32 v6, v10, v6
	v_add_f16_e32 v10, v38, v36
	;; [unrolled: 1-line block ×3, first 2 shown]
	v_fma_f16 v33, -0.5, v72, v0
	v_fma_f16 v45, -0.5, v75, v15
	v_fmamk_f16 v38, v35, 0x3aee, v4
	v_fmac_f16_e32 v4, 0xbaee, v35
	v_fmamk_f16 v35, v39, 0xbaee, v37
	v_fmac_f16_e32 v37, 0x3aee, v39
	v_add_f16_e32 v12, v44, v70
	v_fmamk_f16 v39, v42, 0x3aee, v5
	v_fmamk_f16 v41, v8, 0xbaee, v40
	v_fmac_f16_e32 v5, 0xbaee, v42
	v_fmac_f16_e32 v40, 0x3aee, v8
	v_add_f16_e32 v13, v46, v13
	v_add_f16_e32 v34, v69, v74
	v_fmamk_f16 v8, v68, 0x3aee, v2
	v_fmamk_f16 v42, v9, 0xbaee, v43
	v_fmac_f16_e32 v2, 0xbaee, v68
	v_fmac_f16_e32 v43, 0x3aee, v9
	v_fmamk_f16 v36, v73, 0x3aee, v33
	v_fmac_f16_e32 v33, 0xbaee, v73
	v_fmamk_f16 v46, v76, 0xbaee, v45
	v_fmac_f16_e32 v45, 0x3aee, v76
	v_pack_b32_f16 v6, v6, v10
	v_pack_b32_f16 v10, v38, v35
	;; [unrolled: 1-line block ×9, first 2 shown]
	ds_write2_b32 v67, v6, v10 offset1:3
	ds_write_b32 v67, v4 offset:24
	ds_write2_b32 v66, v7, v12 offset1:3
	ds_write_b32 v66, v5 offset:24
	;; [unrolled: 2-line block ×3, first 2 shown]
	s_and_saveexec_b32 s0, vcc_lo
	s_cbranch_execz .LBB0_11
; %bb.10:
	v_add_f16_e32 v2, v15, v32
	v_add_f16_e32 v0, v0, v3
	v_mul_u32_u24_sdwa v3, v58, v14 dst_sel:DWORD dst_unused:UNUSED_PAD src0_sel:WORD_0 src1_sel:DWORD
	v_add_f16_e32 v2, v2, v31
	v_add_f16_e32 v0, v0, v1
	v_perm_b32 v1, v46, v36, 0x5040100
	v_add_lshl_u32 v3, v3, v59, 2
	v_pack_b32_f16 v0, v0, v2
	v_perm_b32 v2, v45, v33, 0x5040100
	ds_write2_b32 v3, v0, v1 offset1:3
	ds_write_b32 v3, v2 offset:24
.LBB0_11:
	s_or_b32 exec_lo, exec_lo, s0
	v_mul_lo_u16 v0, v11, 57
	s_waitcnt lgkmcnt(0)
	s_barrier
	buffer_gl0_inv
	v_add_nc_u32_e32 v41, 0x400, v47
	v_lshrrev_b16 v34, 9, v0
	v_mul_lo_u16 v0, v30, 57
	v_mov_b32_e32 v42, 45
	v_cmp_gt_u16_e64 s0, 27, v55
	v_mul_lo_u16 v1, v34, 9
	v_lshrrev_b16 v35, 9, v0
	v_mul_u32_u24_sdwa v34, v34, v42 dst_sel:DWORD dst_unused:UNUSED_PAD src0_sel:WORD_0 src1_sel:DWORD
	v_sub_nc_u16 v0, v55, v1
	v_mul_lo_u16 v1, v35, 9
	v_mul_u32_u24_sdwa v35, v35, v42 dst_sel:DWORD dst_unused:UNUSED_PAD src0_sel:WORD_0 src1_sel:DWORD
	v_and_b32_e32 v39, 0xff, v0
	v_sub_nc_u16 v0, v29, v1
	v_lshlrev_b32_e32 v1, 4, v39
	v_and_b32_e32 v40, 0xff, v0
	v_add_lshl_u32 v69, v34, v39, 2
	global_load_dwordx4 v[8:11], v1, s[2:3] offset:24
	v_lshlrev_b32_e32 v0, 4, v40
	v_add_lshl_u32 v68, v35, v40, 2
	global_load_dwordx4 v[4:7], v0, s[2:3] offset:24
	v_add_nc_u32_e32 v1, 0x200, v47
	v_add_nc_u32_e32 v0, 0x600, v47
	ds_read2_b32 v[37:38], v47 offset1:63
	ds_read2_b32 v[2:3], v47 offset0:126 offset1:189
	ds_read2_b32 v[12:13], v1 offset0:124 offset1:187
	;; [unrolled: 1-line block ×4, first 2 shown]
	s_waitcnt vmcnt(0) lgkmcnt(0)
	s_barrier
	buffer_gl0_inv
	v_lshrrev_b32_e32 v42, 16, v37
	v_lshrrev_b32_e32 v43, 16, v2
	;; [unrolled: 1-line block ×10, first 2 shown]
	v_mul_f16_sdwa v34, v43, v8 dst_sel:DWORD dst_unused:UNUSED_PAD src0_sel:DWORD src1_sel:WORD_1
	v_mul_f16_sdwa v35, v2, v8 dst_sel:DWORD dst_unused:UNUSED_PAD src0_sel:DWORD src1_sel:WORD_1
	;; [unrolled: 1-line block ×16, first 2 shown]
	v_fma_f16 v2, v2, v8, -v34
	v_fmac_f16_e32 v35, v43, v8
	v_fma_f16 v12, v12, v9, -v39
	v_fmac_f16_e32 v40, v60, v9
	;; [unrolled: 2-line block ×4, first 2 shown]
	v_fma_f16 v3, v3, v4, -v80
	v_fma_f16 v13, v13, v5, -v82
	v_fmac_f16_e32 v83, v73, v5
	v_fma_f16 v15, v15, v6, -v84
	v_fmac_f16_e32 v85, v74, v6
	v_fmac_f16_e32 v81, v44, v4
	v_fma_f16 v32, v32, v7, -v86
	v_fmac_f16_e32 v87, v75, v7
	v_add_f16_e32 v34, v37, v2
	v_add_f16_e32 v39, v12, v14
	v_sub_f16_e32 v60, v2, v12
	v_sub_f16_e32 v71, v31, v14
	v_add_f16_e32 v72, v2, v31
	v_add_f16_e32 v75, v42, v35
	v_add_f16_e32 v76, v40, v77
	v_add_f16_e32 v84, v35, v79
	v_sub_f16_e32 v43, v35, v79
	v_sub_f16_e32 v73, v12, v2
	;; [unrolled: 1-line block ×6, first 2 shown]
	v_add_f16_e32 v88, v38, v3
	v_add_f16_e32 v89, v13, v15
	;; [unrolled: 1-line block ×6, first 2 shown]
	v_sub_f16_e32 v44, v40, v77
	v_sub_f16_e32 v2, v2, v31
	;; [unrolled: 1-line block ×3, first 2 shown]
	v_add_f16_e32 v12, v34, v12
	v_fma_f16 v34, -0.5, v39, v37
	v_add_f16_e32 v39, v60, v71
	v_fma_f16 v60, -0.5, v72, v37
	;; [unrolled: 2-line block ×3, first 2 shown]
	v_fmac_f16_e32 v42, -0.5, v84
	v_sub_f16_e32 v90, v81, v87
	v_sub_f16_e32 v92, v3, v13
	;; [unrolled: 1-line block ×5, first 2 shown]
	v_add_f16_e32 v72, v73, v74
	v_add_f16_e32 v75, v35, v86
	v_add_f16_e32 v13, v88, v13
	v_fma_f16 v35, -0.5, v89, v38
	v_fma_f16 v73, -0.5, v98, v70
	v_sub_f16_e32 v91, v83, v85
	v_fmac_f16_e32 v38, -0.5, v94
	v_add_f16_e32 v71, v97, v83
	v_fmac_f16_e32 v70, -0.5, v102
	v_sub_f16_e32 v82, v79, v77
	v_add_f16_e32 v12, v12, v14
	v_fmamk_f16 v14, v43, 0x3b9c, v34
	v_fmamk_f16 v84, v2, 0xbb9c, v40
	v_sub_f16_e32 v100, v81, v83
	v_sub_f16_e32 v81, v83, v81
	v_fmamk_f16 v83, v44, 0xbb9c, v60
	v_fmac_f16_e32 v60, 0x3b9c, v44
	v_fmamk_f16 v86, v78, 0x3b9c, v42
	v_fmac_f16_e32 v42, 0xbb9c, v78
	v_fmac_f16_e32 v34, 0xbb9c, v43
	;; [unrolled: 1-line block ×3, first 2 shown]
	v_sub_f16_e32 v93, v32, v15
	v_sub_f16_e32 v96, v15, v32
	;; [unrolled: 1-line block ×3, first 2 shown]
	v_add_f16_e32 v13, v13, v15
	v_fmamk_f16 v15, v90, 0x3b9c, v35
	v_fmamk_f16 v88, v3, 0xbb9c, v73
	v_sub_f16_e32 v103, v85, v87
	v_add_f16_e32 v77, v37, v77
	v_fmac_f16_e32 v35, 0xbb9c, v90
	v_fmamk_f16 v37, v91, 0xbb9c, v38
	v_fmac_f16_e32 v38, 0x3b9c, v91
	v_add_f16_e32 v85, v71, v85
	v_fmac_f16_e32 v73, 0x3b9c, v3
	v_fmamk_f16 v71, v99, 0x3b9c, v70
	v_fmac_f16_e32 v70, 0xbb9c, v99
	v_add_f16_e32 v74, v80, v82
	v_fmac_f16_e32 v14, 0x38b4, v44
	v_fmac_f16_e32 v84, 0xb8b4, v78
	;; [unrolled: 1-line block ×8, first 2 shown]
	v_add_f16_e32 v76, v92, v93
	v_add_f16_e32 v82, v100, v101
	v_fmac_f16_e32 v15, 0x38b4, v91
	v_fmac_f16_e32 v88, 0xb8b4, v99
	v_add_f16_e32 v80, v95, v96
	v_add_f16_e32 v81, v81, v103
	v_fmac_f16_e32 v35, 0xb8b4, v91
	v_fmac_f16_e32 v37, 0x38b4, v90
	;; [unrolled: 1-line block ×6, first 2 shown]
	v_add_f16_e32 v12, v12, v31
	v_add_f16_e32 v31, v77, v79
	v_fmac_f16_e32 v14, 0x34f2, v39
	v_fmac_f16_e32 v84, 0x34f2, v74
	v_add_f16_e32 v2, v13, v32
	v_add_f16_e32 v13, v85, v87
	v_fmac_f16_e32 v83, 0x34f2, v72
	v_fmac_f16_e32 v60, 0x34f2, v72
	;; [unrolled: 1-line block ×14, first 2 shown]
	v_pack_b32_f16 v3, v12, v31
	v_pack_b32_f16 v12, v14, v84
	;; [unrolled: 1-line block ×10, first 2 shown]
	ds_write2_b32 v69, v3, v12 offset1:9
	ds_write2_b32 v69, v13, v14 offset0:18 offset1:27
	ds_write_b32 v69, v31 offset:144
	ds_write2_b32 v68, v2, v15 offset1:9
	ds_write2_b32 v68, v32, v34 offset0:18 offset1:27
	ds_write_b32 v68, v39 offset:144
	s_waitcnt lgkmcnt(0)
	s_barrier
	buffer_gl0_inv
	ds_read2_b32 v[39:40], v47 offset1:90
	ds_read2_b32 v[43:44], v1 offset0:52 offset1:142
	ds_read2_b32 v[41:42], v41 offset0:104 offset1:194
	ds_read_b32 v77, v47 offset:2160
                                        ; implicit-def: $vgpr75
                                        ; implicit-def: $vgpr74
                                        ; implicit-def: $vgpr76
	s_and_saveexec_b32 s1, s0
	s_cbranch_execz .LBB0_13
; %bb.12:
	ds_read2_b32 v[37:38], v47 offset0:63 offset1:153
	ds_read2_b32 v[35:36], v1 offset0:115 offset1:205
	;; [unrolled: 1-line block ×3, first 2 shown]
	ds_read_b32 v74, v47 offset:2412
	s_waitcnt lgkmcnt(3)
	v_lshrrev_b32_e32 v71, 16, v37
	v_lshrrev_b32_e32 v70, 16, v38
	s_waitcnt lgkmcnt(2)
	v_lshrrev_b32_e32 v73, 16, v35
	v_lshrrev_b32_e32 v46, 16, v36
	;; [unrolled: 3-line block ×3, first 2 shown]
	s_waitcnt lgkmcnt(0)
	v_lshrrev_b32_e32 v76, 16, v74
.LBB0_13:
	s_or_b32 exec_lo, exec_lo, s1
	v_subrev_nc_u32_e32 v0, 45, v55
	v_cmp_gt_u16_e64 s1, 45, v55
	s_waitcnt lgkmcnt(3)
	v_lshrrev_b32_e32 v78, 16, v40
	s_waitcnt lgkmcnt(2)
	v_lshrrev_b32_e32 v79, 16, v43
	;; [unrolled: 2-line block ×4, first 2 shown]
	v_cndmask_b32_e64 v72, v0, v55, s1
	v_lshrrev_b32_e32 v81, 16, v44
	v_lshrrev_b32_e32 v83, 16, v41
	v_mul_i32_i24_e32 v0, 24, v72
	v_mul_hi_i32_i24_e32 v1, 24, v72
	v_add_co_u32 v0, s1, s2, v0
	v_add_co_ci_u32_e64 v1, s1, s3, v1, s1
	v_cmp_lt_u16_e64 s1, 44, v55
	s_clause 0x1
	global_load_dwordx4 v[12:15], v[0:1], off offset:168
	global_load_dwordx2 v[31:32], v[0:1], off offset:184
	v_mul_lo_u16 v0, 0x6d, v30
	v_cndmask_b32_e64 v80, 0, 0x13b, s1
	v_lshrrev_b16 v0, 8, v0
	v_add_lshl_u32 v72, v72, v80, 2
	v_sub_nc_u16 v1, v29, v0
	v_lshrrev_b16 v1, 1, v1
	v_and_b32_e32 v1, 0x7f, v1
	v_add_nc_u16 v0, v1, v0
	v_lshrrev_b16 v0, 5, v0
	v_mul_lo_u16 v0, v0, 45
	v_sub_nc_u16 v60, v29, v0
	v_and_b32_e32 v82, 0xff, v60
	v_mad_u64_u32 v[29:30], null, v82, 24, s[2:3]
	s_clause 0x1
	global_load_dwordx4 v[0:3], v[29:30], off offset:168
	global_load_dwordx2 v[29:30], v[29:30], off offset:184
	s_waitcnt vmcnt(0)
	s_barrier
	buffer_gl0_inv
	v_mul_f16_sdwa v80, v78, v12 dst_sel:DWORD dst_unused:UNUSED_PAD src0_sel:DWORD src1_sel:WORD_1
	v_mul_f16_sdwa v86, v40, v12 dst_sel:DWORD dst_unused:UNUSED_PAD src0_sel:DWORD src1_sel:WORD_1
	;; [unrolled: 1-line block ×12, first 2 shown]
	v_fma_f16 v40, v40, v12, -v80
	v_fmac_f16_e32 v86, v78, v12
	v_fma_f16 v43, v43, v13, -v87
	v_fmac_f16_e32 v88, v79, v13
	;; [unrolled: 2-line block ×6, first 2 shown]
	v_add_f16_e32 v78, v40, v77
	v_add_f16_e32 v79, v86, v96
	;; [unrolled: 1-line block ×4, first 2 shown]
	v_sub_f16_e32 v40, v40, v77
	v_sub_f16_e32 v77, v86, v96
	;; [unrolled: 1-line block ×4, first 2 shown]
	v_add_f16_e32 v83, v44, v41
	v_add_f16_e32 v84, v90, v92
	v_sub_f16_e32 v41, v41, v44
	v_sub_f16_e32 v44, v92, v90
	v_add_f16_e32 v85, v80, v78
	v_add_f16_e32 v86, v81, v79
	v_sub_f16_e32 v87, v80, v78
	v_sub_f16_e32 v88, v81, v79
	;; [unrolled: 1-line block ×6, first 2 shown]
	v_add_f16_e32 v89, v41, v42
	v_add_f16_e32 v90, v44, v43
	v_sub_f16_e32 v91, v41, v42
	v_sub_f16_e32 v92, v44, v43
	;; [unrolled: 1-line block ×4, first 2 shown]
	v_add_f16_e32 v83, v83, v85
	v_add_f16_e32 v84, v84, v86
	v_sub_f16_e32 v41, v40, v41
	v_sub_f16_e32 v44, v77, v44
	v_add_f16_e32 v40, v89, v40
	v_add_f16_e32 v77, v90, v77
	v_mul_f16_e32 v78, 0x3a52, v78
	v_mul_f16_e32 v79, 0x3a52, v79
	;; [unrolled: 1-line block ×8, first 2 shown]
	v_add_f16_e32 v93, v39, v83
	v_add_f16_sdwa v39, v39, v84 dst_sel:DWORD dst_unused:UNUSED_PAD src0_sel:WORD_1 src1_sel:DWORD
	v_fmamk_f16 v80, v80, 0x2b26, v78
	v_fmamk_f16 v81, v81, 0x2b26, v79
	v_fma_f16 v85, v87, 0x39e0, -v85
	v_fma_f16 v86, v88, 0x39e0, -v86
	;; [unrolled: 1-line block ×4, first 2 shown]
	v_fmamk_f16 v87, v41, 0x3574, v89
	v_fmamk_f16 v88, v44, 0x3574, v90
	v_fma_f16 v42, v42, 0x3b00, -v89
	v_fma_f16 v43, v43, 0x3b00, -v90
	;; [unrolled: 1-line block ×4, first 2 shown]
	v_fmamk_f16 v83, v83, 0xbcab, v93
	v_fmamk_f16 v84, v84, 0xbcab, v39
	v_fmac_f16_e32 v87, 0x370e, v40
	v_fmac_f16_e32 v88, 0x370e, v77
	;; [unrolled: 1-line block ×6, first 2 shown]
	v_pack_b32_f16 v89, v93, v39
	v_add_f16_e32 v39, v80, v83
	v_add_f16_e32 v40, v81, v84
	;; [unrolled: 1-line block ×6, first 2 shown]
	v_mul_f16_sdwa v81, v70, v0 dst_sel:DWORD dst_unused:UNUSED_PAD src0_sel:DWORD src1_sel:WORD_1
	v_mul_f16_sdwa v83, v38, v0 dst_sel:DWORD dst_unused:UNUSED_PAD src0_sel:DWORD src1_sel:WORD_1
	;; [unrolled: 1-line block ×12, first 2 shown]
	v_add_f16_e32 v97, v88, v39
	v_sub_f16_e32 v98, v40, v87
	v_sub_f16_e32 v101, v77, v43
	v_add_f16_e32 v102, v42, v80
	v_add_f16_e32 v43, v43, v77
	v_sub_f16_e32 v42, v80, v42
	v_sub_f16_e32 v39, v39, v88
	v_add_f16_e32 v40, v87, v40
	v_fma_f16 v38, v38, v0, -v81
	v_fmac_f16_e32 v83, v70, v0
	v_fma_f16 v35, v35, v1, -v84
	v_fmac_f16_e32 v85, v73, v1
	v_fmac_f16_e32 v92, v45, v3
	v_fma_f16 v34, v34, v29, -v93
	v_fmac_f16_e32 v94, v75, v29
	v_fma_f16 v45, v74, v30, -v95
	v_fmac_f16_e32 v96, v76, v30
	v_add_f16_e32 v99, v44, v78
	v_sub_f16_e32 v100, v79, v41
	v_sub_f16_e32 v44, v78, v44
	v_add_f16_e32 v41, v41, v79
	v_fma_f16 v36, v36, v2, -v86
	v_fmac_f16_e32 v90, v46, v2
	v_fma_f16 v33, v33, v3, -v91
	v_pack_b32_f16 v74, v43, v42
	v_pack_b32_f16 v84, v39, v40
	v_add_f16_e32 v39, v38, v45
	v_add_f16_e32 v40, v83, v96
	;; [unrolled: 1-line block ×4, first 2 shown]
	v_pack_b32_f16 v75, v44, v41
	v_sub_f16_e32 v38, v38, v45
	v_sub_f16_e32 v41, v83, v96
	;; [unrolled: 1-line block ×4, first 2 shown]
	v_add_f16_e32 v44, v36, v33
	v_add_f16_e32 v45, v90, v92
	v_sub_f16_e32 v33, v33, v36
	v_sub_f16_e32 v36, v92, v90
	v_add_f16_e32 v76, v42, v39
	v_add_f16_e32 v77, v43, v40
	v_sub_f16_e32 v78, v42, v39
	v_sub_f16_e32 v79, v43, v40
	;; [unrolled: 1-line block ×6, first 2 shown]
	v_add_f16_e32 v80, v33, v34
	v_add_f16_e32 v81, v36, v35
	v_sub_f16_e32 v83, v33, v34
	v_sub_f16_e32 v85, v36, v35
	;; [unrolled: 1-line block ×4, first 2 shown]
	v_add_f16_e32 v44, v44, v76
	v_add_f16_e32 v45, v45, v77
	v_sub_f16_e32 v86, v38, v33
	v_sub_f16_e32 v36, v41, v36
	v_add_f16_e32 v76, v80, v38
	v_add_f16_e32 v41, v81, v41
	v_mul_f16_e32 v38, 0x3a52, v39
	v_mul_f16_e32 v39, 0x3a52, v40
	;; [unrolled: 1-line block ×8, first 2 shown]
	v_add_f16_e32 v33, v37, v44
	v_add_f16_e32 v35, v71, v45
	v_fmamk_f16 v42, v42, 0x2b26, v38
	v_fmamk_f16 v43, v43, 0x2b26, v39
	v_fma_f16 v71, v78, 0x39e0, -v40
	v_fma_f16 v77, v79, 0x39e0, -v77
	;; [unrolled: 1-line block ×4, first 2 shown]
	v_fmamk_f16 v37, v86, 0x3574, v80
	v_fmamk_f16 v38, v36, 0x3574, v81
	v_fma_f16 v34, v34, 0x3b00, -v80
	v_fma_f16 v80, v87, 0x3b00, -v81
	;; [unrolled: 1-line block ×4, first 2 shown]
	v_fmamk_f16 v36, v44, 0xbcab, v33
	v_fmamk_f16 v44, v45, 0xbcab, v35
	v_fmac_f16_e32 v37, 0x370e, v76
	v_fmac_f16_e32 v38, 0x370e, v41
	;; [unrolled: 1-line block ×6, first 2 shown]
	v_add_f16_e32 v41, v42, v36
	v_add_f16_e32 v45, v71, v36
	v_add_f16_e32 v71, v77, v44
	v_add_f16_e32 v43, v43, v44
	v_add_f16_e32 v42, v78, v36
	v_add_f16_e32 v44, v79, v44
	v_pack_b32_f16 v46, v97, v98
	v_sub_f16_e32 v36, v45, v80
	v_add_f16_e32 v81, v34, v71
	v_add_f16_e32 v79, v80, v45
	v_sub_f16_e32 v80, v71, v34
	v_sub_f16_e32 v34, v42, v39
	v_add_f16_e32 v76, v40, v44
	v_sub_f16_e32 v77, v41, v38
	v_add_f16_e32 v78, v37, v43
	v_pack_b32_f16 v70, v99, v100
	v_pack_b32_f16 v73, v101, v102
	ds_write2_b32 v72, v89, v46 offset1:45
	ds_write2_b32 v72, v70, v73 offset0:90 offset1:135
	ds_write2_b32 v72, v74, v75 offset0:180 offset1:225
	ds_write_b32 v72, v84 offset:1080
	s_and_saveexec_b32 s1, s0
	s_cbranch_execz .LBB0_15
; %bb.14:
	v_sub_f16_e32 v37, v43, v37
	v_add_f16_e32 v38, v38, v41
	v_lshlrev_b32_e32 v41, 2, v82
	v_sub_f16_e32 v40, v44, v40
	v_add_f16_e32 v39, v39, v42
	v_perm_b32 v33, v35, v33, 0x5040100
	v_pack_b32_f16 v35, v38, v37
	v_add_nc_u32_e32 v37, 0x400, v41
	v_perm_b32 v42, v76, v34, 0x5040100
	v_pack_b32_f16 v38, v39, v40
	v_perm_b32 v39, v81, v36, 0x5040100
	v_perm_b32 v40, v80, v79, 0x5040100
	v_add_nc_u32_e32 v43, 0x600, v41
	v_perm_b32 v44, v78, v77, 0x5040100
	ds_write2_b32 v37, v33, v35 offset0:59 offset1:104
	ds_write2_b32 v37, v38, v39 offset0:149 offset1:194
	ds_write2_b32 v43, v40, v42 offset0:111 offset1:156
	ds_write_b32 v41, v44 offset:2340
.LBB0_15:
	s_or_b32 exec_lo, exec_lo, s1
	v_add_co_u32 v33, s1, s2, v47
	v_add_co_ci_u32_e64 v35, null, s3, 0, s1
	s_waitcnt lgkmcnt(0)
	v_add_co_u32 v37, s1, 0x800, v33
	v_add_co_ci_u32_e64 v38, s1, 0, v35, s1
	s_barrier
	buffer_gl0_inv
	s_clause 0x4
	global_load_dword v70, v47, s[2:3] offset:1248
	global_load_dword v71, v47, s[2:3] offset:1500
	;; [unrolled: 1-line block ×4, first 2 shown]
	global_load_dword v75, v[37:38], off offset:208
	v_add_nc_u32_e32 v46, 0x200, v47
	v_add_nc_u32_e32 v45, 0x400, v47
	;; [unrolled: 1-line block ×3, first 2 shown]
	ds_read2_b32 v[37:38], v47 offset1:63
	ds_read2_b32 v[39:40], v47 offset0:126 offset1:189
	ds_read2_b32 v[41:42], v46 offset0:124 offset1:187
	;; [unrolled: 1-line block ×4, first 2 shown]
	s_waitcnt lgkmcnt(2)
	v_lshrrev_b32_e32 v87, 16, v42
	s_waitcnt lgkmcnt(1)
	v_lshrrev_b32_e32 v88, 16, v43
	v_lshrrev_b32_e32 v89, 16, v44
	s_waitcnt lgkmcnt(0)
	v_lshrrev_b32_e32 v90, 16, v82
	v_lshrrev_b32_e32 v92, 16, v83
	;; [unrolled: 1-line block ×7, first 2 shown]
	s_waitcnt vmcnt(4)
	v_mul_f16_sdwa v94, v42, v70 dst_sel:DWORD dst_unused:UNUSED_PAD src0_sel:DWORD src1_sel:WORD_1
	s_waitcnt vmcnt(3)
	v_mul_f16_sdwa v96, v43, v71 dst_sel:DWORD dst_unused:UNUSED_PAD src0_sel:DWORD src1_sel:WORD_1
	v_mul_f16_sdwa v93, v87, v70 dst_sel:DWORD dst_unused:UNUSED_PAD src0_sel:DWORD src1_sel:WORD_1
	;; [unrolled: 1-line block ×3, first 2 shown]
	s_waitcnt vmcnt(2)
	v_mul_f16_sdwa v97, v89, v73 dst_sel:DWORD dst_unused:UNUSED_PAD src0_sel:DWORD src1_sel:WORD_1
	v_mul_f16_sdwa v98, v44, v73 dst_sel:DWORD dst_unused:UNUSED_PAD src0_sel:DWORD src1_sel:WORD_1
	s_waitcnt vmcnt(1)
	v_mul_f16_sdwa v99, v90, v74 dst_sel:DWORD dst_unused:UNUSED_PAD src0_sel:DWORD src1_sel:WORD_1
	v_mul_f16_sdwa v100, v82, v74 dst_sel:DWORD dst_unused:UNUSED_PAD src0_sel:DWORD src1_sel:WORD_1
	v_fmac_f16_e32 v94, v87, v70
	v_fmac_f16_e32 v96, v88, v71
	s_waitcnt vmcnt(0)
	v_mul_f16_sdwa v87, v92, v75 dst_sel:DWORD dst_unused:UNUSED_PAD src0_sel:DWORD src1_sel:WORD_1
	v_mul_f16_sdwa v88, v83, v75 dst_sel:DWORD dst_unused:UNUSED_PAD src0_sel:DWORD src1_sel:WORD_1
	v_fma_f16 v42, v42, v70, -v93
	v_fma_f16 v43, v43, v71, -v95
	;; [unrolled: 1-line block ×3, first 2 shown]
	v_fmac_f16_e32 v98, v89, v73
	v_fma_f16 v82, v82, v74, -v99
	v_fmac_f16_e32 v100, v90, v74
	v_sub_f16_e32 v89, v33, v94
	v_sub_f16_e32 v90, v35, v96
	v_fma_f16 v83, v83, v75, -v87
	v_fmac_f16_e32 v88, v92, v75
	v_sub_f16_e32 v42, v37, v42
	v_sub_f16_e32 v43, v38, v43
	;; [unrolled: 1-line block ×6, first 2 shown]
	v_fma_f16 v87, v33, 2.0, -v89
	v_fma_f16 v92, v35, 2.0, -v90
	v_sub_f16_e32 v35, v41, v83
	v_sub_f16_e32 v33, v91, v88
	v_fma_f16 v37, v37, 2.0, -v42
	v_fma_f16 v38, v38, 2.0, -v43
	;; [unrolled: 1-line block ×8, first 2 shown]
	v_pack_b32_f16 v42, v42, v89
	v_pack_b32_f16 v37, v37, v87
	;; [unrolled: 1-line block ×9, first 2 shown]
	ds_write_b32 v47, v42 offset:1260
	v_pack_b32_f16 v42, v35, v33
	ds_write2_b32 v47, v37, v38 offset1:63
	ds_write2_b32 v45, v43, v44 offset0:122 offset1:185
	ds_write2_b32 v47, v39, v40 offset0:126 offset1:189
	ds_write_b32 v47, v41 offset:1008
	ds_write2_b32 v84, v82, v42 offset0:120 offset1:183
	s_waitcnt lgkmcnt(0)
	s_barrier
	buffer_gl0_inv
	global_load_dword v41, v[18:19], off offset:472
	v_add_co_u32 v37, s1, 0x9d8, v16
	v_add_co_ci_u32_e64 v38, s1, 0, v17, s1
	v_add_co_u32 v39, s1, 0x1000, v16
	v_add_co_ci_u32_e64 v40, s1, 0, v17, s1
	s_clause 0x7
	global_load_dword v85, v[37:38], off offset:252
	global_load_dword v86, v[39:40], off offset:608
	;; [unrolled: 1-line block ×8, first 2 shown]
	ds_read2_b32 v[39:40], v47 offset1:63
	ds_read_b32 v93, v47 offset:2184
	s_waitcnt lgkmcnt(1)
	v_lshrrev_b32_e32 v42, 16, v39
	s_waitcnt lgkmcnt(0)
	v_lshrrev_b32_e32 v94, 16, v93
	s_waitcnt vmcnt(8)
	v_mul_f16_sdwa v43, v42, v41 dst_sel:DWORD dst_unused:UNUSED_PAD src0_sel:DWORD src1_sel:WORD_1
	v_mul_f16_sdwa v44, v39, v41 dst_sel:DWORD dst_unused:UNUSED_PAD src0_sel:DWORD src1_sel:WORD_1
	s_waitcnt vmcnt(7)
	v_mul_f16_sdwa v96, v40, v85 dst_sel:DWORD dst_unused:UNUSED_PAD src0_sel:DWORD src1_sel:WORD_1
	v_fma_f16 v39, v39, v41, -v43
	v_fmac_f16_e32 v44, v42, v41
	s_waitcnt vmcnt(6)
	v_mul_f16_sdwa v97, v94, v86 dst_sel:DWORD dst_unused:UNUSED_PAD src0_sel:DWORD src1_sel:WORD_1
	v_mul_f16_sdwa v98, v93, v86 dst_sel:DWORD dst_unused:UNUSED_PAD src0_sel:DWORD src1_sel:WORD_1
	v_pack_b32_f16 v39, v39, v44
	v_fmac_f16_e32 v98, v94, v86
	ds_write_b32 v47, v39
	ds_read2_b32 v[41:42], v47 offset0:126 offset1:210
	ds_read2_b32 v[43:44], v45 offset0:164 offset1:227
	;; [unrolled: 1-line block ×3, first 2 shown]
	v_lshrrev_b32_e32 v39, 16, v40
	v_mul_f16_sdwa v95, v39, v85 dst_sel:DWORD dst_unused:UNUSED_PAD src0_sel:DWORD src1_sel:WORD_1
	v_fmac_f16_e32 v96, v39, v85
	v_fma_f16 v39, v93, v86, -v97
	v_fma_f16 v40, v40, v85, -v95
	v_pack_b32_f16 v39, v39, v98
	v_pack_b32_f16 v40, v40, v96
	s_waitcnt lgkmcnt(2)
	v_lshrrev_b32_e32 v85, 16, v42
	s_waitcnt vmcnt(5)
	v_mul_f16_sdwa v86, v42, v87 dst_sel:DWORD dst_unused:UNUSED_PAD src0_sel:DWORD src1_sel:WORD_1
	s_waitcnt lgkmcnt(1)
	v_lshrrev_b32_e32 v93, 16, v43
	s_waitcnt vmcnt(4)
	v_mul_f16_sdwa v94, v43, v88 dst_sel:DWORD dst_unused:UNUSED_PAD src0_sel:DWORD src1_sel:WORD_1
	;; [unrolled: 4-line block ×3, first 2 shown]
	v_lshrrev_b32_e32 v97, 16, v44
	s_waitcnt vmcnt(2)
	v_mul_f16_sdwa v98, v44, v90 dst_sel:DWORD dst_unused:UNUSED_PAD src0_sel:DWORD src1_sel:WORD_1
	v_lshrrev_b32_e32 v99, 16, v41
	s_waitcnt vmcnt(0)
	v_mul_f16_sdwa v100, v41, v92 dst_sel:DWORD dst_unused:UNUSED_PAD src0_sel:DWORD src1_sel:WORD_1
	v_lshrrev_b32_e32 v101, 16, v83
	v_mul_f16_sdwa v103, v85, v87 dst_sel:DWORD dst_unused:UNUSED_PAD src0_sel:DWORD src1_sel:WORD_1
	v_fmac_f16_e32 v86, v85, v87
	v_mul_f16_sdwa v85, v93, v88 dst_sel:DWORD dst_unused:UNUSED_PAD src0_sel:DWORD src1_sel:WORD_1
	v_fmac_f16_e32 v94, v93, v88
	v_mul_f16_sdwa v93, v95, v89 dst_sel:DWORD dst_unused:UNUSED_PAD src0_sel:DWORD src1_sel:WORD_1
	v_fmac_f16_e32 v96, v95, v89
	v_mul_f16_sdwa v95, v97, v90 dst_sel:DWORD dst_unused:UNUSED_PAD src0_sel:DWORD src1_sel:WORD_1
	v_fmac_f16_e32 v98, v97, v90
	v_mul_f16_sdwa v97, v99, v92 dst_sel:DWORD dst_unused:UNUSED_PAD src0_sel:DWORD src1_sel:WORD_1
	v_mul_f16_sdwa v102, v83, v91 dst_sel:DWORD dst_unused:UNUSED_PAD src0_sel:DWORD src1_sel:WORD_1
	v_fmac_f16_e32 v100, v99, v92
	v_mul_f16_sdwa v99, v101, v91 dst_sel:DWORD dst_unused:UNUSED_PAD src0_sel:DWORD src1_sel:WORD_1
	v_fma_f16 v42, v42, v87, -v103
	v_fma_f16 v82, v82, v89, -v93
	;; [unrolled: 1-line block ×3, first 2 shown]
	v_fmac_f16_e32 v102, v101, v91
	v_fma_f16 v43, v43, v88, -v85
	v_fma_f16 v83, v83, v91, -v99
	;; [unrolled: 1-line block ×3, first 2 shown]
	v_pack_b32_f16 v42, v42, v86
	v_pack_b32_f16 v82, v82, v96
	;; [unrolled: 1-line block ×6, first 2 shown]
	ds_write2_b32 v46, v42, v82 offset0:82 offset1:145
	ds_write2_b32 v47, v40, v41 offset0:63 offset1:126
	;; [unrolled: 1-line block ×4, first 2 shown]
	s_and_saveexec_b32 s2, vcc_lo
	s_cbranch_execz .LBB0_17
; %bb.16:
	v_add_co_u32 v39, s1, 0x800, v37
	global_load_dword v41, v[37:38], off offset:756
	v_add_co_ci_u32_e64 v40, s1, 0, v38, s1
	s_clause 0x1
	global_load_dword v42, v[37:38], off offset:1596
	global_load_dword v39, v[39:40], off offset:388
	v_add_nc_u32_e32 v40, 0x280, v47
	ds_read2_b32 v[37:38], v40 offset0:29 offset1:239
	ds_read_b32 v43, v47 offset:2436
	s_waitcnt lgkmcnt(1)
	v_lshrrev_b32_e32 v44, 16, v37
	v_lshrrev_b32_e32 v46, 16, v38
	s_waitcnt lgkmcnt(0)
	v_lshrrev_b32_e32 v83, 16, v43
	s_waitcnt vmcnt(2)
	v_mul_f16_sdwa v82, v44, v41 dst_sel:DWORD dst_unused:UNUSED_PAD src0_sel:DWORD src1_sel:WORD_1
	v_mul_f16_sdwa v84, v37, v41 dst_sel:DWORD dst_unused:UNUSED_PAD src0_sel:DWORD src1_sel:WORD_1
	s_waitcnt vmcnt(1)
	v_mul_f16_sdwa v85, v46, v42 dst_sel:DWORD dst_unused:UNUSED_PAD src0_sel:DWORD src1_sel:WORD_1
	v_mul_f16_sdwa v86, v38, v42 dst_sel:DWORD dst_unused:UNUSED_PAD src0_sel:DWORD src1_sel:WORD_1
	v_fma_f16 v37, v37, v41, -v82
	s_waitcnt vmcnt(0)
	v_mul_f16_sdwa v82, v83, v39 dst_sel:DWORD dst_unused:UNUSED_PAD src0_sel:DWORD src1_sel:WORD_1
	v_mul_f16_sdwa v87, v43, v39 dst_sel:DWORD dst_unused:UNUSED_PAD src0_sel:DWORD src1_sel:WORD_1
	v_fmac_f16_e32 v84, v44, v41
	v_fma_f16 v38, v38, v42, -v85
	v_fmac_f16_e32 v86, v46, v42
	v_fma_f16 v41, v43, v39, -v82
	v_fmac_f16_e32 v87, v83, v39
	v_pack_b32_f16 v37, v37, v84
	v_pack_b32_f16 v38, v38, v86
	;; [unrolled: 1-line block ×3, first 2 shown]
	ds_write2_b32 v40, v37, v38 offset0:29 offset1:239
	ds_write_b32 v47, v39 offset:2436
.LBB0_17:
	s_or_b32 exec_lo, exec_lo, s2
	s_waitcnt lgkmcnt(0)
	s_barrier
	buffer_gl0_inv
	ds_read2_b32 v[43:44], v47 offset1:63
	ds_read2_b32 v[41:42], v47 offset0:126 offset1:210
	ds_read2_b32 v[39:40], v45 offset0:164 offset1:227
	;; [unrolled: 1-line block ×3, first 2 shown]
	ds_read_b32 v82, v47 offset:2184
	s_and_saveexec_b32 s1, vcc_lo
	s_cbranch_execz .LBB0_19
; %bb.18:
	v_add_nc_u32_e32 v33, 0x280, v47
	ds_read2_b32 v[35:36], v33 offset0:29 offset1:239
	ds_read_b32 v79, v47 offset:2436
	s_waitcnt lgkmcnt(1)
	v_lshrrev_b32_e32 v33, 16, v35
	v_lshrrev_b32_e32 v81, 16, v36
	s_waitcnt lgkmcnt(0)
	v_lshrrev_b32_e32 v80, 16, v79
.LBB0_19:
	s_or_b32 exec_lo, exec_lo, s1
	s_waitcnt lgkmcnt(3)
	v_pk_add_f16 v83, v43, v42
	s_waitcnt lgkmcnt(2)
	v_pk_add_f16 v88, v42, v39
	v_pk_add_f16 v42, v42, v39 neg_lo:[0,1] neg_hi:[0,1]
	v_sub_f16_e32 v85, v81, v80
	v_add_f16_e32 v87, v81, v33
	v_add_f16_e32 v81, v81, v80
	v_pk_fma_f16 v43, v88, 0.5, v43 op_sel_hi:[1,0,1] neg_lo:[1,0,0] neg_hi:[1,0,0]
	v_pk_mul_f16 v42, 0x3aee, v42 op_sel_hi:[0,1]
	v_add_f16_e32 v37, v36, v79
	s_waitcnt lgkmcnt(1)
	v_pk_add_f16 v84, v44, v45
	v_add_f16_e32 v38, v36, v35
	v_fmac_f16_e32 v33, -0.5, v81
	v_sub_f16_e32 v81, v36, v79
	v_add_f16_e32 v36, v80, v87
	v_pk_add_f16 v80, v43, v42 op_sel:[0,1] op_sel_hi:[1,0] neg_lo:[0,1] neg_hi:[0,1]
	v_pk_add_f16 v42, v43, v42 op_sel:[0,1] op_sel_hi:[1,0]
	v_pk_add_f16 v43, v45, v40
	v_pk_add_f16 v45, v45, v40 neg_lo:[0,1] neg_hi:[0,1]
	v_pk_add_f16 v86, v41, v46
	v_pk_add_f16 v39, v83, v39
	s_waitcnt lgkmcnt(0)
	v_pk_add_f16 v83, v46, v82
	v_pk_add_f16 v46, v46, v82 neg_lo:[0,1] neg_hi:[0,1]
	v_fmac_f16_e32 v35, -0.5, v37
	v_add_f16_e32 v37, v79, v38
	v_fmamk_f16 v79, v81, 0x3aee, v33
	v_fmac_f16_e32 v33, 0xbaee, v81
	v_bfi_b32 v81, 0xffff, v80, v42
	v_pk_fma_f16 v43, v43, 0.5, v44 op_sel_hi:[1,0,1] neg_lo:[1,0,0] neg_hi:[1,0,0]
	v_pk_mul_f16 v44, 0x3aee, v45 op_sel_hi:[0,1]
	v_pk_fma_f16 v41, v83, 0.5, v41 op_sel_hi:[1,0,1] neg_lo:[1,0,0] neg_hi:[1,0,0]
	v_pk_mul_f16 v45, 0x3aee, v46 op_sel_hi:[0,1]
	s_barrier
	buffer_gl0_inv
	ds_write2_b32 v61, v39, v81 offset1:1
	v_pk_add_f16 v39, v43, v44 op_sel:[0,1] op_sel_hi:[1,0] neg_lo:[0,1] neg_hi:[0,1]
	v_pk_add_f16 v43, v43, v44 op_sel:[0,1] op_sel_hi:[1,0]
	v_pk_add_f16 v44, v41, v45 op_sel:[0,1] op_sel_hi:[1,0] neg_lo:[0,1] neg_hi:[0,1]
	v_pk_add_f16 v41, v41, v45 op_sel:[0,1] op_sel_hi:[1,0]
	v_fmamk_f16 v38, v85, 0xbaee, v35
	v_fmac_f16_e32 v35, 0x3aee, v85
	v_bfi_b32 v42, 0xffff, v42, v80
	v_pk_add_f16 v40, v84, v40
	v_bfi_b32 v45, 0xffff, v39, v43
	v_bfi_b32 v39, 0xffff, v43, v39
	v_pk_add_f16 v43, v86, v82
	v_bfi_b32 v46, 0xffff, v44, v41
	v_bfi_b32 v41, 0xffff, v41, v44
	ds_write_b32 v61, v42 offset:8
	ds_write2_b32 v62, v40, v45 offset1:1
	ds_write_b32 v62, v39 offset:8
	ds_write2_b32 v64, v43, v46 offset1:1
	ds_write_b32 v64, v41 offset:8
	s_and_saveexec_b32 s1, vcc_lo
	s_cbranch_execz .LBB0_21
; %bb.20:
	v_lshlrev_b32_e32 v39, 2, v63
	v_perm_b32 v40, v79, v38, 0x5040100
	v_perm_b32 v41, v36, v37, 0x5040100
	;; [unrolled: 1-line block ×3, first 2 shown]
	ds_write2_b32 v39, v41, v40 offset1:1
	ds_write_b32 v39, v42 offset:8
.LBB0_21:
	s_or_b32 exec_lo, exec_lo, s1
	v_add_nc_u32_e32 v43, 0x400, v47
	s_waitcnt lgkmcnt(0)
	s_barrier
	buffer_gl0_inv
	ds_read2_b32 v[41:42], v47 offset1:63
	ds_read2_b32 v[39:40], v47 offset0:126 offset1:210
	ds_read2_b32 v[45:46], v43 offset0:164 offset1:227
	;; [unrolled: 1-line block ×3, first 2 shown]
	ds_read_b32 v61, v47 offset:2184
	s_and_saveexec_b32 s1, vcc_lo
	s_cbranch_execz .LBB0_23
; %bb.22:
	v_add_nc_u32_e32 v33, 0x280, v47
	ds_read2_b32 v[37:38], v33 offset0:29 offset1:239
	ds_read_b32 v35, v47 offset:2436
	s_waitcnt lgkmcnt(1)
	v_lshrrev_b32_e32 v36, 16, v37
	v_lshrrev_b32_e32 v79, 16, v38
	s_waitcnt lgkmcnt(0)
	v_lshrrev_b32_e32 v33, 16, v35
.LBB0_23:
	s_or_b32 exec_lo, exec_lo, s1
	s_waitcnt lgkmcnt(3)
	v_lshrrev_b32_e32 v63, 16, v40
	s_waitcnt lgkmcnt(2)
	v_lshrrev_b32_e32 v64, 16, v45
	;; [unrolled: 2-line block ×3, first 2 shown]
	v_lshrrev_b32_e32 v82, 16, v46
	v_mul_f16_sdwa v86, v27, v40 dst_sel:DWORD dst_unused:UNUSED_PAD src0_sel:WORD_1 src1_sel:DWORD
	v_mul_f16_sdwa v85, v27, v63 dst_sel:DWORD dst_unused:UNUSED_PAD src0_sel:WORD_1 src1_sel:DWORD
	;; [unrolled: 1-line block ×3, first 2 shown]
	v_lshrrev_b32_e32 v84, 16, v44
	v_mul_f16_sdwa v89, v28, v45 dst_sel:DWORD dst_unused:UNUSED_PAD src0_sel:WORD_1 src1_sel:DWORD
	s_waitcnt lgkmcnt(0)
	v_lshrrev_b32_e32 v88, 16, v61
	v_fmac_f16_e32 v85, v27, v40
	v_fma_f16 v40, v27, v63, -v86
	v_fmac_f16_e32 v87, v28, v45
	v_mul_f16_sdwa v45, v25, v81 dst_sel:DWORD dst_unused:UNUSED_PAD src0_sel:WORD_1 src1_sel:DWORD
	v_mul_f16_sdwa v63, v26, v82 dst_sel:DWORD dst_unused:UNUSED_PAD src0_sel:WORD_1 src1_sel:DWORD
	v_fma_f16 v28, v28, v64, -v89
	v_mul_f16_sdwa v27, v25, v43 dst_sel:DWORD dst_unused:UNUSED_PAD src0_sel:WORD_1 src1_sel:DWORD
	v_mul_f16_sdwa v64, v26, v46 dst_sel:DWORD dst_unused:UNUSED_PAD src0_sel:WORD_1 src1_sel:DWORD
	v_fmac_f16_e32 v45, v25, v43
	v_mul_f16_sdwa v43, v23, v84 dst_sel:DWORD dst_unused:UNUSED_PAD src0_sel:WORD_1 src1_sel:DWORD
	v_fmac_f16_e32 v63, v26, v46
	v_mul_f16_sdwa v46, v23, v44 dst_sel:DWORD dst_unused:UNUSED_PAD src0_sel:WORD_1 src1_sel:DWORD
	v_fma_f16 v25, v25, v81, -v27
	v_fma_f16 v26, v26, v82, -v64
	v_fmac_f16_e32 v43, v23, v44
	v_mul_f16_sdwa v44, v24, v88 dst_sel:DWORD dst_unused:UNUSED_PAD src0_sel:WORD_1 src1_sel:DWORD
	v_mul_f16_sdwa v64, v24, v61 dst_sel:DWORD dst_unused:UNUSED_PAD src0_sel:WORD_1 src1_sel:DWORD
	;; [unrolled: 1-line block ×3, first 2 shown]
	v_fma_f16 v46, v23, v84, -v46
	v_mul_f16_sdwa v23, v21, v38 dst_sel:DWORD dst_unused:UNUSED_PAD src0_sel:WORD_1 src1_sel:DWORD
	v_fmac_f16_e32 v44, v24, v61
	v_fma_f16 v61, v24, v88, -v64
	v_fmac_f16_e32 v27, v21, v38
	v_add_f16_e32 v24, v85, v87
	v_fma_f16 v23, v21, v79, -v23
	v_mul_f16_sdwa v21, v22, v33 dst_sel:DWORD dst_unused:UNUSED_PAD src0_sel:WORD_1 src1_sel:DWORD
	v_mul_f16_sdwa v38, v22, v35 dst_sel:DWORD dst_unused:UNUSED_PAD src0_sel:WORD_1 src1_sel:DWORD
	v_lshrrev_b32_e32 v62, 16, v41
	v_add_f16_e32 v64, v41, v85
	v_fma_f16 v41, -0.5, v24, v41
	v_fmac_f16_e32 v21, v22, v35
	v_fma_f16 v24, v22, v33, -v38
	v_add_f16_e32 v22, v40, v28
	v_add_f16_e32 v33, v62, v40
	v_lshrrev_b32_e32 v80, 16, v42
	v_sub_f16_e32 v79, v40, v28
	v_add_f16_e32 v40, v45, v63
	v_fmac_f16_e32 v62, -0.5, v22
	v_sub_f16_e32 v22, v85, v87
	v_add_f16_e32 v35, v64, v87
	v_add_f16_e32 v28, v33, v28
	;; [unrolled: 1-line block ×3, first 2 shown]
	v_fmac_f16_e32 v42, -0.5, v40
	v_fmamk_f16 v64, v22, 0x3aee, v62
	v_fmac_f16_e32 v62, 0xbaee, v22
	v_add_f16_e32 v22, v25, v26
	v_sub_f16_e32 v40, v25, v26
	v_add_f16_e32 v25, v80, v25
	v_lshrrev_b32_e32 v83, 16, v39
	v_fmamk_f16 v38, v79, 0xbaee, v41
	v_fmac_f16_e32 v41, 0x3aee, v79
	v_add_f16_e32 v79, v33, v63
	v_add_f16_e32 v33, v43, v44
	v_fmac_f16_e32 v80, -0.5, v22
	v_sub_f16_e32 v22, v45, v63
	v_fmamk_f16 v81, v40, 0xbaee, v42
	v_fmac_f16_e32 v42, 0x3aee, v40
	v_add_f16_e32 v40, v25, v26
	v_add_f16_e32 v25, v39, v43
	v_fmac_f16_e32 v39, -0.5, v33
	v_sub_f16_e32 v26, v46, v61
	v_fmamk_f16 v45, v22, 0x3aee, v80
	v_fmac_f16_e32 v80, 0xbaee, v22
	v_add_f16_e32 v22, v83, v46
	v_add_f16_e32 v63, v25, v44
	;; [unrolled: 1-line block ×3, first 2 shown]
	v_fmamk_f16 v82, v26, 0xbaee, v39
	v_fmac_f16_e32 v39, 0x3aee, v26
	v_add_f16_e32 v26, v27, v21
	v_add_f16_e32 v46, v22, v61
	;; [unrolled: 1-line block ×3, first 2 shown]
	v_fmac_f16_e32 v83, -0.5, v25
	v_sub_f16_e32 v43, v43, v44
	v_fma_f16 v33, -0.5, v26, v37
	v_sub_f16_e32 v26, v23, v24
	v_fma_f16 v25, -0.5, v22, v36
	v_sub_f16_e32 v44, v27, v21
	v_pack_b32_f16 v28, v35, v28
	v_pack_b32_f16 v35, v38, v64
	v_fmamk_f16 v61, v43, 0x3aee, v83
	v_fmac_f16_e32 v83, 0xbaee, v43
	v_fmamk_f16 v22, v26, 0xbaee, v33
	v_fmac_f16_e32 v33, 0x3aee, v26
	;; [unrolled: 2-line block ×3, first 2 shown]
	s_barrier
	buffer_gl0_inv
	ds_write2_b32 v67, v28, v35 offset1:3
	v_pack_b32_f16 v28, v41, v62
	v_pack_b32_f16 v35, v79, v40
	;; [unrolled: 1-line block ×7, first 2 shown]
	ds_write_b32 v67, v28 offset:24
	ds_write2_b32 v66, v35, v38 offset1:3
	ds_write_b32 v66, v40 offset:24
	ds_write2_b32 v65, v41, v42 offset1:3
	ds_write_b32 v65, v39 offset:24
	s_and_saveexec_b32 s1, vcc_lo
	s_cbranch_execz .LBB0_25
; %bb.24:
	v_add_f16_e32 v23, v23, v36
	v_mov_b32_e32 v28, 9
	v_add_f16_e32 v27, v27, v37
	v_add_f16_e32 v23, v24, v23
	v_mul_u32_u24_sdwa v24, v58, v28 dst_sel:DWORD dst_unused:UNUSED_PAD src0_sel:WORD_0 src1_sel:DWORD
	v_add_f16_e32 v21, v27, v21
	v_perm_b32 v27, v26, v22, 0x5040100
	v_add_lshl_u32 v24, v24, v59, 2
	v_pack_b32_f16 v21, v21, v23
	v_perm_b32 v23, v25, v33, 0x5040100
	ds_write2_b32 v24, v21, v27 offset1:3
	ds_write_b32 v24, v23 offset:24
.LBB0_25:
	s_or_b32 exec_lo, exec_lo, s1
	s_waitcnt lgkmcnt(0)
	s_barrier
	buffer_gl0_inv
	ds_read2_b32 v[23:24], v47 offset1:63
	ds_read2_b32 v[36:37], v47 offset0:126 offset1:189
	v_add_nc_u32_e32 v28, 0x200, v47
	v_add_nc_u32_e32 v44, 0x400, v47
	v_add_nc_u32_e32 v35, 0x600, v47
	ds_read2_b32 v[38:39], v28 offset0:124 offset1:187
	ds_read2_b32 v[40:41], v44 offset0:122 offset1:185
	;; [unrolled: 1-line block ×3, first 2 shown]
	s_waitcnt lgkmcnt(0)
	s_barrier
	buffer_gl0_inv
	v_lshrrev_b32_e32 v45, 16, v23
	v_lshrrev_b32_e32 v21, 16, v36
	v_mul_f16_sdwa v58, v8, v36 dst_sel:DWORD dst_unused:UNUSED_PAD src0_sel:WORD_1 src1_sel:DWORD
	v_lshrrev_b32_e32 v46, 16, v37
	v_lshrrev_b32_e32 v27, 16, v24
	;; [unrolled: 1-line block ×4, first 2 shown]
	v_mul_f16_sdwa v66, v8, v21 dst_sel:DWORD dst_unused:UNUSED_PAD src0_sel:WORD_1 src1_sel:DWORD
	v_lshrrev_b32_e32 v62, 16, v42
	v_fma_f16 v21, v8, v21, -v58
	v_mul_f16_sdwa v58, v9, v38 dst_sel:DWORD dst_unused:UNUSED_PAD src0_sel:WORD_1 src1_sel:DWORD
	v_mul_f16_sdwa v67, v10, v40 dst_sel:DWORD dst_unused:UNUSED_PAD src0_sel:WORD_1 src1_sel:DWORD
	v_fmac_f16_e32 v66, v8, v36
	v_mul_f16_sdwa v8, v9, v59 dst_sel:DWORD dst_unused:UNUSED_PAD src0_sel:WORD_1 src1_sel:DWORD
	v_mul_f16_sdwa v36, v10, v61 dst_sel:DWORD dst_unused:UNUSED_PAD src0_sel:WORD_1 src1_sel:DWORD
	v_lshrrev_b32_e32 v63, 16, v39
	v_mul_f16_sdwa v79, v11, v42 dst_sel:DWORD dst_unused:UNUSED_PAD src0_sel:WORD_1 src1_sel:DWORD
	v_mul_f16_sdwa v80, v11, v62 dst_sel:DWORD dst_unused:UNUSED_PAD src0_sel:WORD_1 src1_sel:DWORD
	v_fma_f16 v58, v9, v59, -v58
	v_fma_f16 v59, v10, v61, -v67
	v_fmac_f16_e32 v8, v9, v38
	v_fmac_f16_e32 v36, v10, v40
	v_mul_f16_sdwa v9, v4, v46 dst_sel:DWORD dst_unused:UNUSED_PAD src0_sel:WORD_1 src1_sel:DWORD
	v_mul_f16_sdwa v10, v4, v37 dst_sel:DWORD dst_unused:UNUSED_PAD src0_sel:WORD_1 src1_sel:DWORD
	v_lshrrev_b32_e32 v64, 16, v41
	v_lshrrev_b32_e32 v65, 16, v43
	v_fmac_f16_e32 v80, v11, v42
	v_mul_f16_sdwa v38, v5, v63 dst_sel:DWORD dst_unused:UNUSED_PAD src0_sel:WORD_1 src1_sel:DWORD
	v_mul_f16_sdwa v40, v5, v39 dst_sel:DWORD dst_unused:UNUSED_PAD src0_sel:WORD_1 src1_sel:DWORD
	v_fma_f16 v11, v11, v62, -v79
	v_fmac_f16_e32 v9, v4, v37
	v_fma_f16 v4, v4, v46, -v10
	v_add_f16_e32 v10, v8, v36
	v_fmac_f16_e32 v38, v5, v39
	v_fma_f16 v5, v5, v63, -v40
	v_mul_f16_sdwa v37, v6, v64 dst_sel:DWORD dst_unused:UNUSED_PAD src0_sel:WORD_1 src1_sel:DWORD
	v_mul_f16_sdwa v39, v6, v41 dst_sel:DWORD dst_unused:UNUSED_PAD src0_sel:WORD_1 src1_sel:DWORD
	;; [unrolled: 1-line block ×3, first 2 shown]
	v_add_f16_e32 v42, v23, v66
	v_fma_f16 v46, -0.5, v10, v23
	v_sub_f16_e32 v10, v21, v11
	v_sub_f16_e32 v61, v66, v8
	;; [unrolled: 1-line block ×3, first 2 shown]
	v_add_f16_e32 v63, v66, v80
	v_fmac_f16_e32 v37, v6, v41
	v_fma_f16 v6, v6, v64, -v39
	v_fmac_f16_e32 v40, v7, v43
	v_add_f16_e32 v39, v42, v8
	v_fmamk_f16 v41, v10, 0xbb9c, v46
	v_sub_f16_e32 v42, v58, v59
	v_mul_f16_sdwa v43, v7, v43 dst_sel:DWORD dst_unused:UNUSED_PAD src0_sel:WORD_1 src1_sel:DWORD
	v_add_f16_e32 v61, v61, v62
	v_fma_f16 v62, -0.5, v63, v23
	v_fmac_f16_e32 v46, 0x3b9c, v10
	v_add_f16_e32 v64, v45, v21
	v_fmac_f16_e32 v41, 0xb8b4, v42
	v_fma_f16 v7, v7, v65, -v43
	v_fmamk_f16 v43, v42, 0x3b9c, v62
	v_sub_f16_e32 v23, v8, v66
	v_sub_f16_e32 v63, v36, v80
	v_fmac_f16_e32 v46, 0x38b4, v42
	v_add_f16_e32 v65, v58, v59
	v_fmac_f16_e32 v62, 0xbb9c, v42
	v_add_f16_e32 v42, v64, v58
	v_fmac_f16_e32 v41, 0x34f2, v61
	v_fmac_f16_e32 v43, 0xb8b4, v10
	v_add_f16_e32 v23, v23, v63
	v_fma_f16 v63, -0.5, v65, v45
	v_sub_f16_e32 v64, v66, v80
	v_fmac_f16_e32 v46, 0x34f2, v61
	v_fmac_f16_e32 v62, 0x38b4, v10
	v_add_f16_e32 v10, v42, v59
	v_add_f16_e32 v61, v21, v11
	;; [unrolled: 1-line block ×3, first 2 shown]
	v_fmac_f16_e32 v43, 0x34f2, v23
	v_fmamk_f16 v42, v64, 0x3b9c, v63
	v_sub_f16_e32 v8, v8, v36
	v_sub_f16_e32 v36, v21, v58
	;; [unrolled: 1-line block ×3, first 2 shown]
	v_fmac_f16_e32 v62, 0x34f2, v23
	v_fmac_f16_e32 v45, -0.5, v61
	v_add_f16_e32 v61, v10, v11
	v_fmac_f16_e32 v63, 0xbb9c, v64
	v_sub_f16_e32 v21, v58, v21
	v_sub_f16_e32 v11, v59, v11
	v_add_f16_e32 v23, v38, v37
	v_fmac_f16_e32 v42, 0x38b4, v8
	v_add_f16_e32 v10, v36, v65
	v_fmamk_f16 v36, v8, 0xbb9c, v45
	v_fmac_f16_e32 v63, 0xb8b4, v8
	v_add_f16_e32 v11, v21, v11
	v_fmac_f16_e32 v45, 0x3b9c, v8
	v_fma_f16 v21, -0.5, v23, v24
	v_sub_f16_e32 v58, v4, v7
	v_add_f16_e32 v8, v24, v9
	v_fmac_f16_e32 v42, 0x34f2, v10
	v_fmac_f16_e32 v36, 0x38b4, v64
	;; [unrolled: 1-line block ×4, first 2 shown]
	v_fmamk_f16 v59, v58, 0xbb9c, v21
	v_sub_f16_e32 v10, v5, v6
	v_sub_f16_e32 v23, v9, v38
	;; [unrolled: 1-line block ×3, first 2 shown]
	v_fmac_f16_e32 v21, 0x3b9c, v58
	v_add_f16_e32 v65, v9, v40
	v_add_f16_e32 v8, v8, v38
	v_fmac_f16_e32 v36, 0x34f2, v11
	v_fmac_f16_e32 v59, 0xb8b4, v10
	v_add_f16_e32 v23, v23, v64
	v_fmac_f16_e32 v21, 0x38b4, v10
	v_fmac_f16_e32 v24, -0.5, v65
	v_fmac_f16_e32 v45, 0x34f2, v11
	v_add_f16_e32 v11, v5, v6
	v_sub_f16_e32 v64, v38, v9
	v_sub_f16_e32 v65, v37, v40
	v_add_f16_e32 v8, v8, v37
	v_add_f16_e32 v66, v27, v4
	v_fmac_f16_e32 v59, 0x34f2, v23
	v_fmac_f16_e32 v21, 0x34f2, v23
	v_fmamk_f16 v23, v10, 0x3b9c, v24
	v_fmac_f16_e32 v24, 0xbb9c, v10
	v_fma_f16 v10, -0.5, v11, v27
	v_add_f16_e32 v11, v64, v65
	v_add_f16_e32 v64, v4, v7
	;; [unrolled: 1-line block ×3, first 2 shown]
	v_sub_f16_e32 v9, v9, v40
	v_add_f16_e32 v40, v66, v5
	v_fmac_f16_e32 v23, 0xb8b4, v58
	v_fmac_f16_e32 v24, 0x38b4, v58
	v_sub_f16_e32 v37, v38, v37
	v_fmac_f16_e32 v27, -0.5, v64
	v_fmamk_f16 v58, v9, 0x3b9c, v10
	v_add_f16_e32 v38, v40, v6
	v_sub_f16_e32 v40, v4, v5
	v_sub_f16_e32 v64, v7, v6
	v_fmac_f16_e32 v10, 0xbb9c, v9
	v_fmac_f16_e32 v23, 0x34f2, v11
	;; [unrolled: 1-line block ×3, first 2 shown]
	v_fmamk_f16 v11, v37, 0xbb9c, v27
	v_sub_f16_e32 v4, v5, v4
	v_sub_f16_e32 v5, v6, v7
	v_fmac_f16_e32 v27, 0x3b9c, v37
	v_add_f16_e32 v39, v39, v80
	v_fmac_f16_e32 v58, 0x38b4, v37
	v_add_f16_e32 v6, v40, v64
	v_fmac_f16_e32 v10, 0xb8b4, v37
	v_fmac_f16_e32 v11, 0x38b4, v9
	v_add_f16_e32 v4, v4, v5
	v_fmac_f16_e32 v27, 0xb8b4, v9
	v_add_f16_e32 v5, v38, v7
	v_fmac_f16_e32 v58, 0x34f2, v6
	v_fmac_f16_e32 v10, 0x34f2, v6
	v_pack_b32_f16 v6, v39, v61
	v_pack_b32_f16 v7, v41, v42
	v_fmac_f16_e32 v11, 0x34f2, v4
	v_fmac_f16_e32 v27, 0x34f2, v4
	v_pack_b32_f16 v4, v43, v36
	v_pack_b32_f16 v5, v8, v5
	ds_write2_b32 v69, v6, v7 offset1:9
	v_pack_b32_f16 v6, v62, v45
	v_pack_b32_f16 v7, v46, v63
	;; [unrolled: 1-line block ×6, first 2 shown]
	ds_write2_b32 v69, v4, v6 offset0:18 offset1:27
	ds_write_b32 v69, v7 offset:144
	ds_write2_b32 v68, v5, v8 offset1:9
	ds_write2_b32 v68, v9, v36 offset0:18 offset1:27
	ds_write_b32 v68, v37 offset:144
	s_waitcnt lgkmcnt(0)
	s_barrier
	buffer_gl0_inv
	ds_read2_b32 v[4:5], v47 offset1:90
	ds_read2_b32 v[8:9], v28 offset0:52 offset1:142
	ds_read2_b32 v[6:7], v44 offset0:104 offset1:194
	ds_read_b32 v36, v47 offset:2160
	s_and_saveexec_b32 s1, s0
	s_cbranch_execz .LBB0_27
; %bb.26:
	ds_read2_b32 v[23:24], v47 offset0:63 offset1:153
	ds_read2_b32 v[21:22], v28 offset0:115 offset1:205
	;; [unrolled: 1-line block ×3, first 2 shown]
	ds_read_b32 v77, v47 offset:2412
	s_waitcnt lgkmcnt(3)
	v_lshrrev_b32_e32 v11, 16, v23
	v_lshrrev_b32_e32 v27, 16, v24
	s_waitcnt lgkmcnt(2)
	v_lshrrev_b32_e32 v10, 16, v21
	v_lshrrev_b32_e32 v26, 16, v22
	;; [unrolled: 3-line block ×3, first 2 shown]
	s_waitcnt lgkmcnt(0)
	v_lshrrev_b32_e32 v78, 16, v77
.LBB0_27:
	s_or_b32 exec_lo, exec_lo, s1
	s_waitcnt lgkmcnt(3)
	v_lshrrev_b32_e32 v28, 16, v5
	s_waitcnt lgkmcnt(2)
	v_lshrrev_b32_e32 v35, 16, v8
	v_lshrrev_b32_e32 v37, 16, v9
	v_mul_f16_sdwa v38, v12, v5 dst_sel:DWORD dst_unused:UNUSED_PAD src0_sel:WORD_1 src1_sel:DWORD
	s_waitcnt lgkmcnt(1)
	v_lshrrev_b32_e32 v39, 16, v6
	v_mul_f16_sdwa v40, v12, v28 dst_sel:DWORD dst_unused:UNUSED_PAD src0_sel:WORD_1 src1_sel:DWORD
	v_lshrrev_b32_e32 v41, 16, v7
	s_waitcnt lgkmcnt(0)
	v_lshrrev_b32_e32 v42, 16, v36
	v_fma_f16 v28, v12, v28, -v38
	v_mul_f16_sdwa v38, v13, v35 dst_sel:DWORD dst_unused:UNUSED_PAD src0_sel:WORD_1 src1_sel:DWORD
	v_fmac_f16_e32 v40, v12, v5
	v_mul_f16_sdwa v5, v13, v8 dst_sel:DWORD dst_unused:UNUSED_PAD src0_sel:WORD_1 src1_sel:DWORD
	v_mul_f16_sdwa v12, v14, v37 dst_sel:DWORD dst_unused:UNUSED_PAD src0_sel:WORD_1 src1_sel:DWORD
	;; [unrolled: 1-line block ×4, first 2 shown]
	v_fmac_f16_e32 v38, v13, v8
	v_fma_f16 v5, v13, v35, -v5
	v_fmac_f16_e32 v12, v14, v9
	v_fma_f16 v8, v14, v37, -v43
	v_mul_f16_sdwa v9, v32, v42 dst_sel:DWORD dst_unused:UNUSED_PAD src0_sel:WORD_1 src1_sel:DWORD
	v_mul_f16_sdwa v13, v32, v36 dst_sel:DWORD dst_unused:UNUSED_PAD src0_sel:WORD_1 src1_sel:DWORD
	;; [unrolled: 1-line block ×4, first 2 shown]
	v_fmac_f16_e32 v44, v15, v6
	v_mul_f16_sdwa v6, v15, v6 dst_sel:DWORD dst_unused:UNUSED_PAD src0_sel:WORD_1 src1_sel:DWORD
	v_fmac_f16_e32 v9, v32, v36
	v_fma_f16 v13, v32, v42, -v13
	v_fmac_f16_e32 v14, v31, v7
	v_fma_f16 v7, v31, v41, -v35
	v_fma_f16 v6, v15, v39, -v6
	v_add_f16_e32 v15, v40, v9
	v_add_f16_e32 v31, v28, v13
	v_sub_f16_e32 v13, v28, v13
	v_add_f16_e32 v28, v38, v14
	v_add_f16_e32 v32, v5, v7
	v_sub_f16_e32 v14, v38, v14
	v_sub_f16_e32 v5, v5, v7
	v_add_f16_e32 v7, v12, v44
	v_add_f16_e32 v35, v8, v6
	v_sub_f16_e32 v12, v44, v12
	;; [unrolled: 4-line block ×3, first 2 shown]
	v_sub_f16_e32 v37, v28, v15
	v_sub_f16_e32 v38, v32, v31
	;; [unrolled: 1-line block ×6, first 2 shown]
	v_add_f16_e32 v39, v12, v14
	v_add_f16_e32 v40, v6, v5
	v_sub_f16_e32 v41, v12, v14
	v_sub_f16_e32 v42, v6, v5
	v_add_f16_e32 v7, v7, v8
	v_add_f16_e32 v8, v35, v36
	v_sub_f16_e32 v14, v14, v9
	v_sub_f16_e32 v5, v5, v13
	;; [unrolled: 1-line block ×4, first 2 shown]
	v_add_f16_e32 v9, v39, v9
	v_add_f16_e32 v13, v40, v13
	;; [unrolled: 1-line block ×3, first 2 shown]
	v_add_f16_sdwa v4, v4, v8 dst_sel:DWORD dst_unused:UNUSED_PAD src0_sel:WORD_1 src1_sel:DWORD
	v_mul_f16_e32 v15, 0x3a52, v15
	v_mul_f16_e32 v31, 0x3a52, v31
	;; [unrolled: 1-line block ×8, first 2 shown]
	v_fmamk_f16 v7, v7, 0xbcab, v35
	v_fmamk_f16 v8, v8, 0xbcab, v4
	;; [unrolled: 1-line block ×4, first 2 shown]
	v_fma_f16 v36, v37, 0x39e0, -v36
	v_fma_f16 v39, v38, 0x39e0, -v39
	;; [unrolled: 1-line block ×4, first 2 shown]
	v_fmamk_f16 v37, v12, 0xb574, v40
	v_fmamk_f16 v38, v6, 0xb574, v41
	v_fma_f16 v14, v14, 0xbb00, -v40
	v_fma_f16 v5, v5, 0xbb00, -v41
	;; [unrolled: 1-line block ×4, first 2 shown]
	v_add_f16_e32 v28, v28, v7
	v_add_f16_e32 v32, v32, v8
	v_fmac_f16_e32 v37, 0xb70e, v9
	v_fmac_f16_e32 v38, 0xb70e, v13
	v_add_f16_e32 v36, v36, v7
	v_add_f16_e32 v39, v39, v8
	;; [unrolled: 1-line block ×4, first 2 shown]
	v_fmac_f16_e32 v14, 0xb70e, v9
	v_fmac_f16_e32 v6, 0xb70e, v13
	;; [unrolled: 1-line block ×4, first 2 shown]
	v_add_f16_e32 v9, v38, v28
	v_sub_f16_e32 v13, v32, v37
	v_add_f16_e32 v15, v6, v7
	v_sub_f16_e32 v31, v8, v12
	v_sub_f16_e32 v40, v36, v5
	v_add_f16_e32 v41, v14, v39
	v_add_f16_e32 v5, v5, v36
	v_sub_f16_e32 v14, v39, v14
	v_sub_f16_e32 v6, v7, v6
	v_add_f16_e32 v7, v12, v8
	v_sub_f16_e32 v8, v28, v38
	v_add_f16_e32 v12, v37, v32
	v_pack_b32_f16 v4, v35, v4
	v_pack_b32_f16 v9, v9, v13
	;; [unrolled: 1-line block ×7, first 2 shown]
	s_barrier
	buffer_gl0_inv
	ds_write2_b32 v72, v4, v9 offset1:45
	ds_write2_b32 v72, v13, v15 offset0:90 offset1:135
	ds_write2_b32 v72, v5, v6 offset0:180 offset1:225
	ds_write_b32 v72, v7 offset:1080
	s_and_saveexec_b32 s1, s0
	s_cbranch_execz .LBB0_29
; %bb.28:
	v_mul_f16_sdwa v4, v0, v27 dst_sel:DWORD dst_unused:UNUSED_PAD src0_sel:WORD_1 src1_sel:DWORD
	v_mul_f16_sdwa v5, v3, v25 dst_sel:DWORD dst_unused:UNUSED_PAD src0_sel:WORD_1 src1_sel:DWORD
	;; [unrolled: 1-line block ×6, first 2 shown]
	v_fmac_f16_e32 v5, v3, v33
	v_fmac_f16_e32 v6, v2, v22
	v_fmac_f16_e32 v7, v1, v21
	v_fmac_f16_e32 v8, v29, v34
	v_fmac_f16_e32 v4, v0, v24
	v_fmac_f16_e32 v9, v30, v77
	v_mul_f16_sdwa v14, v30, v77 dst_sel:DWORD dst_unused:UNUSED_PAD src0_sel:WORD_1 src1_sel:DWORD
	v_mul_f16_sdwa v24, v0, v24 dst_sel:DWORD dst_unused:UNUSED_PAD src0_sel:WORD_1 src1_sel:DWORD
	;; [unrolled: 1-line block ×4, first 2 shown]
	v_sub_f16_e32 v12, v5, v6
	v_sub_f16_e32 v13, v7, v8
	;; [unrolled: 1-line block ×3, first 2 shown]
	v_fma_f16 v14, v30, v78, -v14
	v_fma_f16 v0, v0, v27, -v24
	v_mul_f16_sdwa v22, v2, v22 dst_sel:DWORD dst_unused:UNUSED_PAD src0_sel:WORD_1 src1_sel:DWORD
	v_mul_f16_sdwa v24, v3, v33 dst_sel:DWORD dst_unused:UNUSED_PAD src0_sel:WORD_1 src1_sel:DWORD
	v_fma_f16 v27, v29, v76, -v31
	v_fma_f16 v1, v1, v10, -v21
	v_sub_f16_e32 v28, v12, v13
	v_sub_f16_e32 v30, v15, v12
	v_add_f16_e32 v10, v12, v13
	v_add_f16_e32 v12, v14, v0
	v_fma_f16 v2, v2, v26, -v22
	v_fma_f16 v3, v3, v25, -v24
	v_add_f16_e32 v21, v27, v1
	v_add_f16_e32 v4, v9, v4
	;; [unrolled: 1-line block ×6, first 2 shown]
	v_sub_f16_e32 v2, v3, v2
	v_sub_f16_e32 v1, v1, v27
	;; [unrolled: 1-line block ×4, first 2 shown]
	v_add_f16_e32 v25, v24, v25
	v_sub_f16_e32 v8, v24, v21
	v_sub_f16_e32 v14, v2, v1
	;; [unrolled: 1-line block ×3, first 2 shown]
	v_mul_f16_e32 v9, 0x3a52, v26
	v_add_f16_e32 v6, v11, v25
	v_add_f16_e32 v11, v7, v4
	v_sub_f16_e32 v26, v4, v5
	v_sub_f16_e32 v27, v0, v2
	v_add_f16_e32 v2, v2, v1
	v_sub_f16_e32 v12, v21, v12
	v_add_f16_e32 v11, v5, v11
	v_mul_f16_e32 v3, 0x3a52, v26
	v_sub_f16_e32 v5, v5, v7
	v_sub_f16_e32 v1, v1, v0
	v_mul_f16_e32 v28, 0x3846, v28
	v_add_f16_e32 v23, v23, v11
	v_mul_f16_e32 v24, 0x2b26, v8
	v_fmamk_f16 v26, v5, 0x2b26, v3
	v_mul_f16_e32 v14, 0x3846, v14
	v_mul_f16_e32 v31, 0xbb00, v13
	v_fmamk_f16 v11, v11, 0xbcab, v23
	v_fmamk_f16 v8, v8, 0x2b26, v9
	v_mul_f16_e32 v5, 0x2b26, v5
	v_sub_f16_e32 v4, v7, v4
	v_fma_f16 v7, v12, 0xb9e0, -v9
	v_mul_f16_e32 v9, 0xbb00, v1
	v_fmamk_f16 v22, v30, 0xb574, v28
	v_add_f16_e32 v10, v10, v15
	v_fmamk_f16 v25, v25, 0xbcab, v6
	v_add_f16_e32 v15, v26, v11
	v_fmamk_f16 v26, v27, 0xb574, v14
	v_add_f16_e32 v0, v2, v0
	v_fma_f16 v2, v30, 0x3574, -v31
	v_fma_f16 v12, v12, 0x39e0, -v24
	;; [unrolled: 1-line block ×7, first 2 shown]
	v_fmac_f16_e32 v22, 0xb70e, v10
	v_add_f16_e32 v8, v8, v25
	v_fmac_f16_e32 v26, 0xb70e, v0
	v_fmac_f16_e32 v2, 0xb70e, v10
	v_add_f16_e32 v7, v7, v25
	v_add_f16_e32 v5, v12, v25
	v_fmac_f16_e32 v13, 0xb70e, v10
	v_mov_b32_e32 v21, 2
	v_add_f16_e32 v3, v3, v11
	v_fmac_f16_e32 v9, 0xb70e, v0
	v_fmac_f16_e32 v1, 0xb70e, v0
	v_add_f16_e32 v0, v4, v11
	v_add_f16_e32 v29, v22, v8
	;; [unrolled: 1-line block ×3, first 2 shown]
	v_sub_f16_e32 v12, v5, v13
	v_add_f16_e32 v5, v13, v5
	v_sub_f16_e32 v2, v7, v2
	v_sub_f16_e32 v7, v8, v22
	v_add_f16_e32 v8, v26, v15
	v_lshlrev_b32_sdwa v13, v21, v60 dst_sel:DWORD dst_unused:UNUSED_PAD src0_sel:DWORD src1_sel:BYTE_0
	v_sub_f16_e32 v11, v3, v9
	v_add_f16_e32 v14, v1, v0
	v_add_f16_e32 v3, v9, v3
	v_sub_f16_e32 v0, v0, v1
	v_sub_f16_e32 v4, v15, v26
	v_pack_b32_f16 v1, v23, v6
	v_pack_b32_f16 v6, v8, v7
	v_add_nc_u32_e32 v7, 0x400, v13
	v_pack_b32_f16 v2, v3, v2
	v_pack_b32_f16 v0, v0, v5
	;; [unrolled: 1-line block ×4, first 2 shown]
	v_add_nc_u32_e32 v8, 0x600, v13
	v_pack_b32_f16 v4, v4, v29
	ds_write2_b32 v7, v1, v6 offset0:59 offset1:104
	ds_write2_b32 v7, v2, v0 offset0:149 offset1:194
	;; [unrolled: 1-line block ×3, first 2 shown]
	ds_write_b32 v13, v4 offset:2340
.LBB0_29:
	s_or_b32 exec_lo, exec_lo, s1
	v_add_nc_u32_e32 v5, 0x200, v47
	v_add_nc_u32_e32 v4, 0x400, v47
	;; [unrolled: 1-line block ×3, first 2 shown]
	s_waitcnt lgkmcnt(0)
	s_barrier
	buffer_gl0_inv
	ds_read2_b32 v[0:1], v47 offset1:63
	ds_read2_b32 v[2:3], v47 offset0:126 offset1:189
	ds_read2_b32 v[5:6], v5 offset0:124 offset1:187
	;; [unrolled: 1-line block ×4, first 2 shown]
	s_mov_b32 s4, 0x1a01a01a
	s_mov_b32 s5, 0x3f5a01a0
	s_waitcnt lgkmcnt(4)
	v_lshrrev_b32_e32 v12, 16, v0
	s_waitcnt lgkmcnt(2)
	v_lshrrev_b32_e32 v21, 16, v6
	;; [unrolled: 2-line block ×3, first 2 shown]
	v_mul_f16_sdwa v27, v70, v6 dst_sel:DWORD dst_unused:UNUSED_PAD src0_sel:WORD_1 src1_sel:DWORD
	v_lshrrev_b32_e32 v23, 16, v8
	s_waitcnt lgkmcnt(0)
	v_lshrrev_b32_e32 v24, 16, v9
	v_mul_f16_sdwa v28, v71, v7 dst_sel:DWORD dst_unused:UNUSED_PAD src0_sel:WORD_1 src1_sel:DWORD
	v_mul_f16_sdwa v29, v73, v8 dst_sel:DWORD dst_unused:UNUSED_PAD src0_sel:WORD_1 src1_sel:DWORD
	v_lshrrev_b32_e32 v26, 16, v10
	v_mul_f16_sdwa v30, v74, v9 dst_sel:DWORD dst_unused:UNUSED_PAD src0_sel:WORD_1 src1_sel:DWORD
	v_mul_f16_sdwa v32, v70, v21 dst_sel:DWORD dst_unused:UNUSED_PAD src0_sel:WORD_1 src1_sel:DWORD
	v_fma_f16 v21, v70, v21, -v27
	v_mul_f16_sdwa v27, v71, v22 dst_sel:DWORD dst_unused:UNUSED_PAD src0_sel:WORD_1 src1_sel:DWORD
	v_fma_f16 v22, v71, v22, -v28
	;; [unrolled: 2-line block ×3, first 2 shown]
	v_mul_f16_sdwa v29, v74, v24 dst_sel:DWORD dst_unused:UNUSED_PAD src0_sel:WORD_1 src1_sel:DWORD
	v_mul_f16_sdwa v31, v75, v10 dst_sel:DWORD dst_unused:UNUSED_PAD src0_sel:WORD_1 src1_sel:DWORD
	v_fma_f16 v24, v74, v24, -v30
	v_mul_f16_sdwa v30, v75, v26 dst_sel:DWORD dst_unused:UNUSED_PAD src0_sel:WORD_1 src1_sel:DWORD
	v_lshrrev_b32_e32 v13, 16, v1
	v_fmac_f16_e32 v32, v70, v6
	v_fmac_f16_e32 v27, v71, v7
	v_lshrrev_b32_e32 v14, 16, v2
	v_lshrrev_b32_e32 v15, 16, v3
	v_fmac_f16_e32 v28, v73, v8
	v_fmac_f16_e32 v29, v74, v9
	v_lshrrev_b32_e32 v25, 16, v5
	v_fma_f16 v6, v75, v26, -v31
	v_fmac_f16_e32 v30, v75, v10
	v_sub_f16_e32 v7, v0, v32
	v_sub_f16_e32 v8, v12, v21
	v_sub_f16_e32 v9, v13, v22
	v_sub_f16_e32 v10, v1, v27
	v_sub_f16_e32 v21, v2, v28
	v_sub_f16_e32 v22, v14, v23
	v_sub_f16_e32 v23, v3, v29
	v_sub_f16_e32 v24, v15, v24
	v_sub_f16_e32 v26, v5, v30
	v_sub_f16_e32 v6, v25, v6
	v_fma_f16 v0, v0, 2.0, -v7
	v_fma_f16 v12, v12, 2.0, -v8
	;; [unrolled: 1-line block ×4, first 2 shown]
	v_pack_b32_f16 v7, v7, v8
	v_fma_f16 v2, v2, 2.0, -v21
	v_fma_f16 v14, v14, 2.0, -v22
	;; [unrolled: 1-line block ×6, first 2 shown]
	v_pack_b32_f16 v0, v0, v12
	v_pack_b32_f16 v1, v1, v13
	ds_write_b32 v47, v7 offset:1260
	v_pack_b32_f16 v7, v10, v9
	v_pack_b32_f16 v9, v21, v22
	;; [unrolled: 1-line block ×7, first 2 shown]
	ds_write2_b32 v47, v0, v1 offset1:63
	ds_write2_b32 v4, v7, v9 offset0:122 offset1:185
	ds_write2_b32 v47, v2, v3 offset0:126 offset1:189
	ds_write_b32 v47, v5 offset:1008
	ds_write2_b32 v11, v8, v6 offset0:120 offset1:183
	s_waitcnt lgkmcnt(0)
	s_barrier
	buffer_gl0_inv
	ds_read2_b32 v[2:3], v47 offset1:63
	ds_read2_b32 v[0:1], v47 offset0:126 offset1:210
	v_mad_u64_u32 v[21:22], null, s8, v55, 0
	v_mov_b32_e32 v15, v22
	s_waitcnt lgkmcnt(1)
	v_lshrrev_b32_e32 v5, 16, v2
	v_mul_f16_sdwa v6, v56, v2 dst_sel:DWORD dst_unused:UNUSED_PAD src0_sel:WORD_1 src1_sel:DWORD
	s_waitcnt lgkmcnt(0)
	v_lshrrev_b32_e32 v7, 16, v1
	v_mul_f16_sdwa v8, v57, v1 dst_sel:DWORD dst_unused:UNUSED_PAD src0_sel:WORD_1 src1_sel:DWORD
	v_mul_f16_sdwa v9, v56, v5 dst_sel:DWORD dst_unused:UNUSED_PAD src0_sel:WORD_1 src1_sel:DWORD
	v_fma_f16 v6, v56, v5, -v6
	v_mul_f16_sdwa v11, v57, v7 dst_sel:DWORD dst_unused:UNUSED_PAD src0_sel:WORD_1 src1_sel:DWORD
	v_fma_f16 v8, v57, v7, -v8
	v_fmac_f16_e32 v9, v56, v2
	v_cvt_f32_f16_e32 v5, v6
	v_fmac_f16_e32 v11, v57, v1
	v_cvt_f32_f16_e32 v2, v8
	v_cvt_f32_f16_e32 v9, v9
	v_cvt_f64_f32_e32 v[5:6], v5
	v_cvt_f32_f16_e32 v13, v11
	v_cvt_f64_f32_e32 v[7:8], v2
	ds_read2_b32 v[1:2], v4 offset0:164 offset1:227
	v_cvt_f64_f32_e32 v[9:10], v9
	v_mad_u64_u32 v[11:12], null, s10, v20, 0
	v_cvt_f64_f32_e32 v[13:14], v13
	v_mul_f64 v[5:6], v[5:6], s[4:5]
	s_waitcnt lgkmcnt(0)
	v_lshrrev_b32_e32 v25, 16, v1
	v_mul_f64 v[7:8], v[7:8], s[4:5]
	v_mul_f64 v[9:10], v[9:10], s[4:5]
	v_mad_u64_u32 v[22:23], null, s11, v20, v[12:13]
	v_mad_u64_u32 v[23:24], null, s9, v55, v[15:16]
	v_mul_f64 v[13:14], v[13:14], s[4:5]
	v_mul_f16_sdwa v20, v54, v25 dst_sel:DWORD dst_unused:UNUSED_PAD src0_sel:WORD_1 src1_sel:DWORD
	v_mov_b32_e32 v12, v22
	v_fmac_f16_e32 v20, v54, v1
	v_mov_b32_e32 v22, v23
	v_mul_f16_sdwa v1, v54, v1 dst_sel:DWORD dst_unused:UNUSED_PAD src0_sel:WORD_1 src1_sel:DWORD
	v_and_or_b32 v5, 0x1ff, v6, v5
	v_bfe_u32 v23, v6, 20, 11
	v_cvt_f32_f16_e32 v15, v20
	v_lshrrev_b32_e32 v20, 8, v6
	v_and_or_b32 v9, 0x1ff, v10, v9
	v_cmp_ne_u32_e64 s0, 0, v5
	v_lshrrev_b32_e32 v27, 8, v10
	v_bfe_u32 v28, v10, 20, 11
	v_sub_nc_u32_e32 v29, 0x3f1, v23
	v_and_or_b32 v7, 0x1ff, v8, v7
	v_cndmask_b32_e64 v5, 0, 1, s0
	v_cmp_ne_u32_e64 s0, 0, v9
	v_sub_nc_u32_e32 v31, 0x3f1, v28
	v_and_or_b32 v13, 0x1ff, v14, v13
	v_add_nc_u32_e32 v23, 0xfffffc10, v23
	v_and_or_b32 v5, 0xffe, v20, v5
	v_cndmask_b32_e64 v9, 0, 1, s0
	v_cmp_ne_u32_e64 s0, 0, v7
	v_add_nc_u32_e32 v28, 0xfffffc10, v28
	v_lshrrev_b32_e32 v30, 8, v14
	v_or_b32_e32 v32, 0x1000, v5
	v_and_or_b32 v9, 0xffe, v27, v9
	v_med3_i32 v27, v29, 0, 13
	v_med3_i32 v29, v31, 0, 13
	v_cndmask_b32_e64 v7, 0, 1, s0
	v_cmp_ne_u32_e64 s0, 0, v13
	v_or_b32_e32 v31, 0x1000, v9
	v_lshrrev_b32_e32 v35, v27, v32
	v_lshl_or_b32 v37, v23, 12, v5
	v_bfe_u32 v20, v14, 20, 11
	v_cndmask_b32_e64 v13, 0, 1, s0
	v_lshrrev_b32_e32 v34, v29, v31
	v_lshlrev_b32_e32 v27, v27, v35
	v_lshrrev_b32_e32 v24, 8, v8
	v_sub_nc_u32_e32 v36, 0x3f1, v20
	v_and_or_b32 v13, 0xffe, v30, v13
	v_lshlrev_b32_e32 v29, v29, v34
	v_bfe_u32 v26, v8, 20, 11
	v_lshrrev_b32_e32 v10, 16, v10
	v_med3_i32 v30, v36, 0, 13
	v_and_or_b32 v7, 0xffe, v24, v7
	v_cmp_ne_u32_e64 s0, v29, v31
	v_lshl_or_b32 v31, v28, 12, v9
	v_sub_nc_u32_e32 v33, 0x3f1, v26
	v_lshrrev_b32_e32 v6, 16, v6
	v_add_nc_u32_e32 v20, 0xfffffc10, v20
	v_cndmask_b32_e64 v29, 0, 1, s0
	v_cmp_ne_u32_e64 s0, v27, v32
	v_or_b32_e32 v32, 0x1000, v13
	v_or_b32_e32 v24, 0x1000, v7
	v_fma_f16 v1, v54, v25, -v1
	v_or_b32_e32 v29, v34, v29
	v_cndmask_b32_e64 v27, 0, 1, s0
	v_cmp_ne_u32_e64 s0, 0, v5
	v_lshrrev_b32_e32 v14, 16, v14
	v_cvt_f32_f16_e32 v1, v1
	v_lshrrev_b32_e32 v8, 16, v8
	v_or_b32_e32 v27, v35, v27
	v_cndmask_b32_e64 v5, 0, 1, s0
	v_cmp_gt_i32_e64 s0, 1, v28
	v_lshl_or_b32 v5, v5, 9, 0x7c00
	v_cndmask_b32_e64 v29, v31, v29, s0
	v_cmp_gt_i32_e64 s0, 1, v23
	v_and_b32_e32 v31, 7, v29
	v_cndmask_b32_e64 v27, v37, v27, s0
	v_cmp_ne_u32_e64 s0, 0, v9
	v_lshrrev_b32_e32 v29, 2, v29
	v_cmp_eq_u32_e64 s1, 3, v31
	v_and_b32_e32 v34, 7, v27
	v_cndmask_b32_e64 v9, 0, 1, s0
	v_cmp_lt_i32_e64 s0, 5, v31
	v_lshrrev_b32_e32 v27, 2, v27
	v_lshrrev_b32_e32 v31, v30, v32
	v_cmp_lt_i32_e64 s2, 5, v34
	v_cmp_eq_u32_e64 s3, 3, v34
	s_or_b32 s0, s1, s0
	v_lshl_or_b32 v9, v9, 9, 0x7c00
	v_add_co_ci_u32_e64 v29, s0, 0, v29, s0
	s_or_b32 s0, s3, s2
	v_add_co_ci_u32_e64 v27, s0, 0, v27, s0
	v_cmp_gt_i32_e64 s0, 31, v28
	v_cndmask_b32_e64 v29, 0x7c00, v29, s0
	v_cmp_gt_i32_e64 s0, 31, v23
	v_cndmask_b32_e64 v27, 0x7c00, v27, s0
	v_cmp_eq_u32_e64 s0, 0x40f, v28
	v_lshlrev_b32_e32 v28, v30, v31
	v_lshl_or_b32 v30, v20, 12, v13
	v_cndmask_b32_e64 v9, v29, v9, s0
	v_cmp_eq_u32_e64 s0, 0x40f, v23
	v_med3_i32 v23, v33, 0, 13
	v_and_or_b32 v9, 0x8000, v10, v9
	v_cndmask_b32_e64 v5, v27, v5, s0
	v_cmp_ne_u32_e64 s0, v28, v32
	v_and_b32_e32 v28, 0xffff, v9
	v_and_or_b32 v27, 0x8000, v6, v5
	v_cndmask_b32_e64 v10, 0, 1, s0
	v_cvt_f64_f32_e32 v[5:6], v15
	v_cmp_gt_i32_e64 s0, 1, v20
	v_lshl_or_b32 v15, v27, 16, v28
	v_or_b32_e32 v29, v31, v10
	v_lshrrev_b32_e32 v31, v23, v24
	v_lshlrev_b64 v[9:10], 2, v[11:12]
	v_cndmask_b32_e64 v11, v30, v29, s0
	v_lshlrev_b32_e32 v12, v23, v31
	v_add_co_u32 v23, s0, s6, v9
	v_add_co_ci_u32_e64 v27, s0, s7, v10, s0
	v_lshlrev_b64 v[9:10], 2, v[21:22]
	v_and_b32_e32 v21, 7, v11
	v_cmp_ne_u32_e64 s0, v12, v24
	v_add_nc_u32_e32 v22, 0xfffffc10, v26
	v_lshrrev_b32_e32 v11, 2, v11
	v_cmp_eq_u32_e64 s1, 3, v21
	v_cndmask_b32_e64 v12, 0, 1, s0
	v_cmp_lt_i32_e64 s0, 5, v21
	v_lshl_or_b32 v21, v22, 12, v7
	v_cmp_gt_i32_e64 s2, 1, v22
	v_mul_f64 v[5:6], v[5:6], s[4:5]
	v_or_b32_e32 v12, v31, v12
	s_or_b32 s0, s1, s0
	v_add_co_ci_u32_e64 v24, s0, 0, v11, s0
	v_cmp_ne_u32_e64 s0, 0, v13
	v_cndmask_b32_e64 v21, v21, v12, s2
	v_cvt_f64_f32_e32 v[11:12], v1
	v_cmp_eq_u32_e64 s2, 0x40f, v20
	v_cndmask_b32_e64 v1, 0, 1, s0
	v_add_co_u32 v9, s0, v23, v9
	v_add_co_ci_u32_e64 v10, s0, v27, v10, s0
	v_and_b32_e32 v13, 7, v21
	v_cmp_gt_i32_e64 s0, 31, v20
	v_lshl_or_b32 v1, v1, 9, 0x7c00
	global_store_dword v[9:10], v15, off
	v_cmp_eq_u32_e64 s1, 3, v13
	v_cndmask_b32_e64 v23, 0x7c00, v24, s0
	v_cmp_lt_i32_e64 s0, 5, v13
	v_lshrrev_b32_e32 v13, 2, v21
	v_and_or_b32 v5, 0x1ff, v6, v5
	v_lshrrev_b32_e32 v20, 8, v6
	v_bfe_u32 v21, v6, 20, 11
	s_or_b32 s0, s1, s0
	v_cndmask_b32_e64 v1, v23, v1, s2
	v_add_co_ci_u32_e64 v13, s0, 0, v13, s0
	v_cmp_ne_u32_e64 s0, 0, v7
	v_mul_f64 v[11:12], v[11:12], s[4:5]
	v_and_or_b32 v1, 0x8000, v14, v1
	s_mul_i32 s1, s9, 0xd2
	s_mul_hi_u32 s2, s8, 0xd2
	v_cndmask_b32_e64 v7, 0, 1, s0
	v_cmp_ne_u32_e64 s0, 0, v5
	v_and_b32_e32 v1, 0xffff, v1
	s_add_i32 s1, s2, s1
	v_lshrrev_b32_e32 v6, 16, v6
	v_lshl_or_b32 v7, v7, 9, 0x7c00
	v_cndmask_b32_e64 v5, 0, 1, s0
	v_cmp_gt_i32_e64 s0, 31, v22
	v_and_or_b32 v5, 0xffe, v20, v5
	v_cndmask_b32_e64 v13, 0x7c00, v13, s0
	v_cmp_eq_u32_e64 s0, 0x40f, v22
	v_sub_nc_u32_e32 v20, 0x3f1, v21
	v_lshrrev_b32_e32 v22, 16, v3
	v_add_nc_u32_e32 v21, 0xfffffc10, v21
	v_cndmask_b32_e64 v7, v13, v7, s0
	v_or_b32_e32 v13, 0x1000, v5
	v_med3_i32 v20, v20, 0, 13
	v_bfe_u32 v23, v12, 20, 11
	v_and_or_b32 v14, 0x8000, v8, v7
	v_mul_f16_sdwa v7, v53, v22 dst_sel:DWORD dst_unused:UNUSED_PAD src0_sel:WORD_1 src1_sel:DWORD
	v_and_or_b32 v8, 0x1ff, v12, v11
	v_lshrrev_b32_e32 v15, v20, v13
	v_lshl_or_b32 v1, v14, 16, v1
	v_fmac_f16_e32 v7, v53, v3
	v_cmp_ne_u32_e64 s0, 0, v8
	v_lshlrev_b32_e32 v11, v20, v15
	v_lshrrev_b32_e32 v20, 8, v12
	v_mul_f16_sdwa v3, v53, v3 dst_sel:DWORD dst_unused:UNUSED_PAD src0_sel:WORD_1 src1_sel:DWORD
	v_cvt_f32_f16_e32 v7, v7
	v_cndmask_b32_e64 v8, 0, 1, s0
	v_cmp_ne_u32_e64 s0, v11, v13
	v_sub_nc_u32_e32 v13, 0x3f1, v23
	v_fma_f16 v3, v53, v22, -v3
	v_lshrrev_b32_e32 v12, 16, v12
	v_and_or_b32 v20, 0xffe, v20, v8
	v_cvt_f64_f32_e32 v[7:8], v7
	v_cndmask_b32_e64 v11, 0, 1, s0
	v_cmp_gt_i32_e64 s0, 1, v21
	v_med3_i32 v13, v13, 0, 13
	v_or_b32_e32 v24, 0x1000, v20
	v_cvt_f32_f16_e32 v3, v3
	v_or_b32_e32 v11, v15, v11
	v_lshl_or_b32 v15, v21, 12, v5
	v_cndmask_b32_e64 v11, v15, v11, s0
	v_lshrrev_b32_e32 v15, v13, v24
	s_mul_i32 s0, s8, 0xd2
	s_lshl_b64 s[12:13], s[0:1], 2
	v_and_b32_e32 v22, 7, v11
	v_lshlrev_b32_e32 v25, v13, v15
	v_cvt_f64_f32_e32 v[13:14], v3
	v_lshrrev_b32_e32 v11, 2, v11
	v_mul_f64 v[7:8], v[7:8], s[4:5]
	v_cmp_lt_i32_e64 s0, 5, v22
	v_cmp_eq_u32_e64 s1, 3, v22
	v_cmp_ne_u32_e64 s2, v25, v24
	v_add_nc_u32_e32 v22, 0xfffffc10, v23
	s_or_b32 s0, s1, s0
	v_cndmask_b32_e64 v3, 0, 1, s2
	v_add_co_ci_u32_e64 v11, s0, 0, v11, s0
	v_cmp_ne_u32_e64 s0, 0, v5
	v_add_co_u32 v9, s2, v9, s12
	v_or_b32_e32 v3, v15, v3
	v_lshl_or_b32 v15, v22, 12, v20
	v_cndmask_b32_e64 v5, 0, 1, s0
	v_cmp_gt_i32_e64 s0, 1, v22
	v_add_co_ci_u32_e64 v10, s2, s13, v10, s2
	v_mul_f64 v[13:14], v[13:14], s[4:5]
	v_lshl_or_b32 v5, v5, 9, 0x7c00
	v_cndmask_b32_e64 v15, v15, v3, s0
	v_cmp_gt_i32_e64 s0, 31, v21
	v_and_or_b32 v7, 0x1ff, v8, v7
	v_bfe_u32 v23, v8, 20, 11
	global_store_dword v[9:10], v1, off
	v_cndmask_b32_e64 v3, 0x7c00, v11, s0
	v_cmp_eq_u32_e64 s0, 0x40f, v21
	v_and_b32_e32 v11, 7, v15
	v_cmp_ne_u32_e64 s1, 0, v7
	v_lshrrev_b32_e32 v21, 8, v8
	v_cndmask_b32_e64 v5, v3, v5, s0
	v_cmp_lt_i32_e64 s0, 5, v11
	v_cndmask_b32_e64 v7, 0, 1, s1
	v_cmp_eq_u32_e64 s1, 3, v11
	ds_read2_b32 v[3:4], v4 offset0:17 offset1:80
	v_and_or_b32 v11, 0x8000, v6, v5
	v_lshrrev_b32_e32 v5, 2, v15
	v_and_or_b32 v7, 0xffe, v21, v7
	s_or_b32 s0, s1, s0
	v_sub_nc_u32_e32 v6, 0x3f1, v23
	v_and_or_b32 v13, 0x1ff, v14, v13
	v_add_co_ci_u32_e64 v5, s0, 0, v5, s0
	v_cmp_gt_i32_e64 s0, 31, v22
	v_or_b32_e32 v15, 0x1000, v7
	v_med3_i32 v6, v6, 0, 13
	v_lshrrev_b32_e32 v24, 8, v14
	v_bfe_u32 v26, v14, 20, 11
	v_cndmask_b32_e64 v5, 0x7c00, v5, s0
	v_cmp_ne_u32_e64 s0, 0, v20
	v_lshrrev_b32_e32 v21, v6, v15
	v_and_b32_e32 v11, 0xffff, v11
	v_sub_nc_u32_e32 v27, 0x3f1, v26
	v_lshrrev_b32_e32 v14, 16, v14
	v_cndmask_b32_e64 v20, 0, 1, s0
	v_cmp_ne_u32_e64 s0, 0, v13
	s_waitcnt lgkmcnt(0)
	v_lshrrev_b32_e32 v25, 16, v3
	v_lshlrev_b32_e32 v6, v6, v21
	v_med3_i32 v27, v27, 0, 13
	v_lshl_or_b32 v20, v20, 9, 0x7c00
	v_cndmask_b32_e64 v13, 0, 1, s0
	v_cmp_eq_u32_e64 s0, 0x40f, v22
	v_and_or_b32 v13, 0xffe, v24, v13
	v_mul_f16_sdwa v24, v52, v25 dst_sel:DWORD dst_unused:UNUSED_PAD src0_sel:WORD_1 src1_sel:DWORD
	v_cndmask_b32_e64 v20, v5, v20, s0
	v_cmp_ne_u32_e64 s0, v6, v15
	v_add_nc_u32_e32 v15, 0xfffffc10, v23
	v_or_b32_e32 v22, 0x1000, v13
	v_fmac_f16_e32 v24, v52, v3
	v_and_or_b32 v12, 0x8000, v12, v20
	v_cndmask_b32_e64 v5, 0, 1, s0
	v_cmp_gt_i32_e64 s0, 1, v15
	v_lshrrev_b32_e32 v23, v27, v22
	v_cvt_f32_f16_e32 v6, v24
	v_lshl_or_b32 v24, v15, 12, v7
	v_or_b32_e32 v21, v21, v5
	v_lshl_or_b32 v1, v12, 16, v11
	v_lshlrev_b32_e32 v27, v27, v23
	v_cvt_f64_f32_e32 v[5:6], v6
	v_mul_f16_sdwa v3, v52, v3 dst_sel:DWORD dst_unused:UNUSED_PAD src0_sel:WORD_1 src1_sel:DWORD
	v_cndmask_b32_e64 v20, v24, v21, s0
	v_cmp_gt_i32_e64 s2, 31, v15
	v_cmp_ne_u32_e64 s0, v27, v22
	v_add_nc_u32_e32 v22, 0xfffffc10, v26
	v_fma_f16 v3, v52, v25, -v3
	v_and_b32_e32 v11, 7, v20
	v_cndmask_b32_e64 v21, 0, 1, s0
	v_add_co_u32 v9, s0, v9, s12
	v_cmp_gt_i32_e64 s1, 1, v22
	v_add_co_ci_u32_e64 v10, s0, s13, v10, s0
	v_or_b32_e32 v12, v23, v21
	v_lshl_or_b32 v21, v22, 12, v13
	v_cmp_lt_i32_e64 s0, 5, v11
	global_store_dword v[9:10], v1, off
	v_lshrrev_b32_e32 v1, 2, v20
	v_cvt_f32_f16_e32 v3, v3
	v_cndmask_b32_e64 v12, v21, v12, s1
	v_cmp_eq_u32_e64 s1, 3, v11
	v_mul_f64 v[5:6], v[5:6], s[4:5]
	v_lshrrev_b32_e32 v21, 16, v2
	v_and_b32_e32 v11, 7, v12
	s_or_b32 s0, s1, s0
	v_lshrrev_b32_e32 v20, 2, v12
	v_add_co_ci_u32_e64 v1, s0, 0, v1, s0
	v_cmp_ne_u32_e64 s0, 0, v7
	v_cmp_eq_u32_e64 s1, 3, v11
	v_cndmask_b32_e64 v1, 0x7c00, v1, s2
	s_mul_i32 s2, s8, 0xfffffe9b
	v_cndmask_b32_e64 v7, 0, 1, s0
	v_cmp_lt_i32_e64 s0, 5, v11
	v_cvt_f64_f32_e32 v[11:12], v3
	v_lshl_or_b32 v3, v7, 9, 0x7c00
	s_or_b32 s0, s1, s0
	s_mul_hi_u32 s1, s8, 0xfffffe9b
	v_add_co_ci_u32_e64 v7, s0, 0, v20, s0
	v_cmp_eq_u32_e64 s0, 0x40f, v15
	v_and_or_b32 v5, 0x1ff, v6, v5
	v_bfe_u32 v20, v6, 20, 11
	s_sub_i32 s1, s1, s8
	v_cndmask_b32_e64 v1, v1, v3, s0
	v_cmp_gt_i32_e64 s0, 31, v22
	v_lshrrev_b32_e32 v3, 16, v8
	v_sub_nc_u32_e32 v23, 0x3f1, v20
	v_cndmask_b32_e64 v15, 0x7c00, v7, s0
	v_cmp_ne_u32_e64 s0, 0, v5
	v_lshrrev_b32_e32 v7, 8, v6
	v_med3_i32 v23, v23, 0, 13
	v_and_or_b32 v1, 0x8000, v3, v1
	v_cndmask_b32_e64 v5, 0, 1, s0
	v_cmp_ne_u32_e64 s0, 0, v13
	v_and_b32_e32 v1, 0xffff, v1
	v_and_or_b32 v5, 0xffe, v7, v5
	v_mul_f64 v[7:8], v[11:12], s[4:5]
	v_cndmask_b32_e64 v13, 0, 1, s0
	v_mul_f16_sdwa v11, v51, v21 dst_sel:DWORD dst_unused:UNUSED_PAD src0_sel:WORD_1 src1_sel:DWORD
	v_cmp_eq_u32_e64 s0, 0x40f, v22
	v_lshl_or_b32 v12, v13, 9, 0x7c00
	v_or_b32_e32 v13, 0x1000, v5
	v_fmac_f16_e32 v11, v51, v2
	v_mul_f16_sdwa v2, v51, v2 dst_sel:DWORD dst_unused:UNUSED_PAD src0_sel:WORD_1 src1_sel:DWORD
	v_cndmask_b32_e64 v3, v15, v12, s0
	v_lshrrev_b32_e32 v15, v23, v13
	v_cvt_f32_f16_e32 v11, v11
	s_mul_i32 s0, s9, 0xfffffe9b
	v_fma_f16 v2, v51, v21, -v2
	s_add_i32 s3, s1, s0
	v_lshlrev_b32_e32 v22, v23, v15
	v_cvt_f64_f32_e32 v[11:12], v11
	v_and_or_b32 v3, 0x8000, v14, v3
	v_add_nc_u32_e32 v14, 0xfffffc10, v20
	s_lshl_b64 s[6:7], s[2:3], 2
	v_cmp_ne_u32_e64 s0, v22, v13
	v_and_or_b32 v7, 0x1ff, v8, v7
	v_lshrrev_b32_e32 v20, 8, v8
	v_bfe_u32 v22, v8, 20, 11
	v_lshl_or_b32 v1, v3, 16, v1
	v_cndmask_b32_e64 v13, 0, 1, s0
	v_cmp_ne_u32_e64 s0, 0, v7
	v_cvt_f32_f16_e32 v2, v2
	v_lshrrev_b32_e32 v8, 16, v8
	v_or_b32_e32 v13, v15, v13
	v_cndmask_b32_e64 v7, 0, 1, s0
	v_lshl_or_b32 v15, v14, 12, v5
	v_cmp_gt_i32_e64 s0, 1, v14
	v_and_or_b32 v3, 0xffe, v20, v7
	v_sub_nc_u32_e32 v7, 0x3f1, v22
	v_cndmask_b32_e64 v13, v15, v13, s0
	v_mul_f64 v[11:12], v[11:12], s[4:5]
	v_add_co_u32 v9, s0, v9, s6
	v_or_b32_e32 v20, 0x1000, v3
	v_med3_i32 v7, v7, 0, 13
	v_and_b32_e32 v15, 7, v13
	v_add_co_ci_u32_e64 v10, s0, s7, v10, s0
	v_lshrrev_b32_e32 v23, v7, v20
	v_cmp_lt_i32_e64 s0, 5, v15
	v_cmp_eq_u32_e64 s1, 3, v15
	global_store_dword v[9:10], v1, off
	v_lshrrev_b32_e32 v1, 2, v13
	v_lshlrev_b32_e32 v7, v7, v23
	v_add_nc_u32_e32 v13, 0xfffffc10, v22
	s_or_b32 s0, s1, s0
	v_add_co_ci_u32_e64 v1, s0, 0, v1, s0
	v_cmp_ne_u32_e64 s0, v7, v20
	v_lshl_or_b32 v20, v13, 12, v3
	v_and_or_b32 v11, 0x1ff, v12, v11
	v_lshrrev_b32_e32 v21, 8, v12
	v_bfe_u32 v22, v12, 20, 11
	v_cndmask_b32_e64 v7, 0, 1, s0
	v_cmp_gt_i32_e64 s0, 31, v14
	v_or_b32_e32 v7, v23, v7
	v_cndmask_b32_e64 v15, 0x7c00, v1, s0
	v_cmp_ne_u32_e64 s0, 0, v11
	v_cvt_f64_f32_e32 v[1:2], v2
	v_cndmask_b32_e64 v11, 0, 1, s0
	v_cmp_ne_u32_e64 s0, 0, v5
	v_and_or_b32 v11, 0xffe, v21, v11
	v_cndmask_b32_e64 v5, 0, 1, s0
	v_cmp_gt_i32_e64 s0, 1, v13
	v_lshrrev_b32_e32 v21, 16, v0
	v_or_b32_e32 v24, 0x1000, v11
	v_lshl_or_b32 v5, v5, 9, 0x7c00
	v_cndmask_b32_e64 v7, v20, v7, s0
	v_sub_nc_u32_e32 v20, 0x3f1, v22
	v_cmp_eq_u32_e64 s0, 0x40f, v14
	v_mul_f16_sdwa v25, v50, v21 dst_sel:DWORD dst_unused:UNUSED_PAD src0_sel:WORD_1 src1_sel:DWORD
	v_add_nc_u32_e32 v22, 0xfffffc10, v22
	v_and_b32_e32 v23, 7, v7
	v_med3_i32 v20, v20, 0, 13
	v_cndmask_b32_e64 v14, v15, v5, s0
	v_lshrrev_b32_e32 v5, 2, v7
	v_mul_f64 v[1:2], v[1:2], s[4:5]
	v_cmp_lt_i32_e64 s0, 5, v23
	v_cmp_eq_u32_e64 s1, 3, v23
	v_lshrrev_b32_e32 v15, v20, v24
	v_fmac_f16_e32 v25, v50, v0
	v_lshrrev_b32_e32 v23, 16, v6
	v_mul_f16_sdwa v0, v50, v0 dst_sel:DWORD dst_unused:UNUSED_PAD src0_sel:WORD_1 src1_sel:DWORD
	s_or_b32 s0, s1, s0
	v_lshlrev_b32_e32 v7, v20, v15
	v_add_co_ci_u32_e64 v20, s0, 0, v5, s0
	v_cmp_ne_u32_e64 s0, 0, v3
	v_cvt_f32_f16_e32 v6, v25
	v_and_or_b32 v14, 0x8000, v23, v14
	v_fma_f16 v0, v50, v21, -v0
	v_lshrrev_b32_e32 v25, 16, v4
	v_cndmask_b32_e64 v3, 0, 1, s0
	v_cmp_ne_u32_e64 s0, v7, v24
	v_cvt_f64_f32_e32 v[5:6], v6
	v_and_b32_e32 v14, 0xffff, v14
	v_cvt_f32_f16_e32 v0, v0
	v_lshl_or_b32 v3, v3, 9, 0x7c00
	v_cndmask_b32_e64 v7, 0, 1, s0
	v_cmp_gt_i32_e64 s0, 31, v13
	v_and_or_b32 v1, 0x1ff, v2, v1
	v_or_b32_e32 v7, v15, v7
	v_cndmask_b32_e64 v20, 0x7c00, v20, s0
	v_cmp_eq_u32_e64 s0, 0x40f, v13
	v_lshl_or_b32 v15, v22, 12, v11
	v_lshrrev_b32_e32 v13, 8, v2
	v_cndmask_b32_e64 v3, v20, v3, s0
	v_cmp_gt_i32_e64 s0, 1, v22
	v_and_or_b32 v3, 0x8000, v8, v3
	v_cndmask_b32_e64 v7, v15, v7, s0
	v_cmp_ne_u32_e64 s0, 0, v1
	v_bfe_u32 v15, v2, 20, 11
	v_mul_f64 v[5:6], v[5:6], s[4:5]
	v_lshl_or_b32 v14, v3, 16, v14
	v_and_b32_e32 v20, 7, v7
	v_cndmask_b32_e64 v1, 0, 1, s0
	v_lshrrev_b32_e32 v7, 2, v7
	v_cmp_lt_i32_e64 s0, 5, v20
	v_and_or_b32 v13, 0xffe, v13, v1
	v_sub_nc_u32_e32 v1, 0x3f1, v15
	v_cmp_eq_u32_e64 s1, 3, v20
	v_add_nc_u32_e32 v15, 0xfffffc10, v15
	v_or_b32_e32 v8, 0x1000, v13
	v_med3_i32 v1, v1, 0, 13
	s_or_b32 s0, s1, s0
	v_add_co_ci_u32_e64 v7, s0, 0, v7, s0
	v_lshrrev_b32_e32 v20, v1, v8
	v_cmp_gt_i32_e64 s0, 31, v22
	v_and_or_b32 v5, 0x1ff, v6, v5
	v_bfe_u32 v21, v6, 20, 11
	v_lshlrev_b32_e32 v1, v1, v20
	v_cndmask_b32_e64 v3, 0x7c00, v7, s0
	v_cmp_ne_u32_e64 s0, v1, v8
	v_cvt_f64_f32_e32 v[0:1], v0
	v_lshrrev_b32_e32 v8, 8, v6
	v_lshrrev_b32_e32 v6, 16, v6
	v_cndmask_b32_e64 v7, 0, 1, s0
	v_cmp_ne_u32_e64 s0, 0, v5
	v_or_b32_e32 v7, v20, v7
	v_cndmask_b32_e64 v5, 0, 1, s0
	v_cmp_ne_u32_e64 s0, 0, v11
	v_lshl_or_b32 v20, v15, 12, v13
	v_and_or_b32 v5, 0xffe, v8, v5
	v_cndmask_b32_e64 v11, 0, 1, s0
	v_sub_nc_u32_e32 v8, 0x3f1, v21
	v_cmp_gt_i32_e64 s0, 1, v15
	v_or_b32_e32 v23, 0x1000, v5
	v_lshl_or_b32 v11, v11, 9, 0x7c00
	v_med3_i32 v24, v8, 0, 13
	v_cndmask_b32_e64 v20, v20, v7, s0
	v_cmp_eq_u32_e64 s0, 0x40f, v22
	v_mul_f64 v[0:1], v[0:1], s[4:5]
	v_lshrrev_b32_e32 v22, v24, v23
	v_cndmask_b32_e64 v3, v3, v11, s0
	v_lshrrev_b32_e32 v11, 16, v12
	v_and_b32_e32 v12, 7, v20
	v_add_co_u32 v7, s0, v9, s12
	v_add_co_ci_u32_e64 v8, s0, s13, v10, s0
	v_and_or_b32 v11, 0x8000, v11, v3
	v_lshlrev_b32_e32 v3, v24, v22
	v_mul_f16_sdwa v9, v49, v25 dst_sel:DWORD dst_unused:UNUSED_PAD src0_sel:WORD_1 src1_sel:DWORD
	v_cmp_lt_i32_e64 s0, 5, v12
	v_cmp_eq_u32_e64 s1, 3, v12
	v_lshrrev_b32_e32 v10, 2, v20
	v_cmp_ne_u32_e64 s2, v3, v23
	v_fmac_f16_e32 v9, v49, v4
	v_add_nc_u32_e32 v12, 0xfffffc10, v21
	s_or_b32 s0, s1, s0
	v_and_b32_e32 v11, 0xffff, v11
	v_add_co_ci_u32_e64 v20, s0, 0, v10, s0
	v_cndmask_b32_e64 v3, 0, 1, s2
	v_cmp_ne_u32_e64 s0, 0, v13
	v_cvt_f32_f16_e32 v9, v9
	v_lshl_or_b32 v21, v12, 12, v5
	v_and_or_b32 v0, 0x1ff, v1, v0
	v_or_b32_e32 v3, v22, v3
	v_cndmask_b32_e64 v13, 0, 1, s0
	v_cmp_gt_i32_e64 s0, 1, v12
	v_cvt_f64_f32_e32 v[9:10], v9
	v_bfe_u32 v22, v1, 20, 11
	v_mul_f16_sdwa v4, v49, v4 dst_sel:DWORD dst_unused:UNUSED_PAD src0_sel:WORD_1 src1_sel:DWORD
	v_lshl_or_b32 v13, v13, 9, 0x7c00
	v_cndmask_b32_e64 v21, v21, v3, s0
	v_cmp_ne_u32_e64 s0, 0, v0
	v_lshrrev_b32_e32 v3, 8, v1
	v_fma_f16 v4, v49, v25, -v4
	v_and_b32_e32 v23, 7, v21
	v_cndmask_b32_e64 v0, 0, 1, s0
	v_cmp_gt_i32_e64 s0, 31, v15
	v_cvt_f32_f16_e32 v4, v4
	v_cmp_eq_u32_e64 s1, 3, v23
	v_and_or_b32 v0, 0xffe, v3, v0
	v_cndmask_b32_e64 v20, 0x7c00, v20, s0
	v_cmp_eq_u32_e64 s0, 0x40f, v15
	v_sub_nc_u32_e32 v15, 0x3f1, v22
	v_or_b32_e32 v24, 0x1000, v0
	v_cndmask_b32_e64 v13, v20, v13, s0
	v_lshrrev_b32_e32 v20, 16, v2
	v_cmp_lt_i32_e64 s0, 5, v23
	v_mul_f64 v[2:3], v[9:10], s[4:5]
	v_med3_i32 v9, v15, 0, 13
	v_and_or_b32 v10, 0x8000, v20, v13
	v_lshrrev_b32_e32 v13, 2, v21
	s_or_b32 s0, s1, s0
	v_lshrrev_b32_e32 v15, v9, v24
	v_add_nc_u32_e32 v21, 0xfffffc10, v22
	v_lshl_or_b32 v20, v10, 16, v11
	v_add_co_ci_u32_e64 v13, s0, 0, v13, s0
	v_cmp_ne_u32_e64 s0, 0, v5
	v_lshlrev_b32_e32 v9, v9, v15
	v_cndmask_b32_e64 v5, 0, 1, s0
	v_cmp_gt_i32_e64 s0, 31, v12
	v_lshl_or_b32 v5, v5, 9, 0x7c00
	v_cndmask_b32_e64 v10, 0x7c00, v13, s0
	v_cmp_ne_u32_e64 s0, v9, v24
	ds_read_b32 v13, v47 offset:2184
	v_and_or_b32 v2, 0x1ff, v3, v2
	v_cndmask_b32_e64 v9, 0, 1, s0
	v_cmp_eq_u32_e64 s0, 0x40f, v12
	v_lshrrev_b32_e32 v12, 8, v3
	v_or_b32_e32 v9, v15, v9
	v_cndmask_b32_e64 v11, v10, v5, s0
	v_cmp_ne_u32_e64 s0, 0, v2
	v_lshl_or_b32 v10, v21, 12, v0
	v_bfe_u32 v15, v3, 20, 11
	v_cvt_f64_f32_e32 v[4:5], v4
	v_and_or_b32 v6, 0x8000, v6, v11
	v_cndmask_b32_e64 v2, 0, 1, s0
	v_cmp_gt_i32_e64 s0, 1, v21
	v_lshrrev_b32_e32 v3, 16, v3
	s_waitcnt lgkmcnt(0)
	v_lshrrev_b32_e32 v23, 16, v13
	v_and_or_b32 v2, 0xffe, v12, v2
	v_cndmask_b32_e64 v22, v10, v9, s0
	v_sub_nc_u32_e32 v9, 0x3f1, v15
	v_add_nc_u32_e32 v15, 0xfffffc10, v15
	v_mul_f16_sdwa v26, v48, v23 dst_sel:DWORD dst_unused:UNUSED_PAD src0_sel:WORD_1 src1_sel:DWORD
	v_or_b32_e32 v24, 0x1000, v2
	v_and_b32_e32 v12, 7, v22
	v_med3_i32 v25, v9, 0, 13
	v_add_co_u32 v9, s0, v7, s12
	v_add_co_ci_u32_e64 v10, s0, s13, v8, s0
	v_lshrrev_b32_e32 v27, v25, v24
	v_fmac_f16_e32 v26, v48, v13
	v_cmp_lt_i32_e64 s0, 5, v12
	v_cmp_eq_u32_e64 s1, 3, v12
	v_lshrrev_b32_e32 v11, 2, v22
	v_lshlrev_b32_e32 v22, v25, v27
	v_cvt_f32_f16_e32 v12, v26
	v_mul_f64 v[4:5], v[4:5], s[4:5]
	s_or_b32 s0, s1, s0
	v_mul_f16_sdwa v13, v48, v13 dst_sel:DWORD dst_unused:UNUSED_PAD src0_sel:WORD_1 src1_sel:DWORD
	v_add_co_ci_u32_e64 v25, s0, 0, v11, s0
	v_cmp_ne_u32_e64 s0, v22, v24
	v_cvt_f64_f32_e32 v[11:12], v12
	v_lshl_or_b32 v24, v15, 12, v2
	v_fma_f16 v13, v48, v23, -v13
	v_and_b32_e32 v6, 0xffff, v6
	v_cndmask_b32_e64 v22, 0, 1, s0
	v_cmp_ne_u32_e64 s0, 0, v0
	v_cvt_f32_f16_e32 v13, v13
	v_or_b32_e32 v22, v27, v22
	v_cndmask_b32_e64 v0, 0, 1, s0
	v_cmp_gt_i32_e64 s0, 31, v21
	v_lshl_or_b32 v0, v0, 9, 0x7c00
	v_cndmask_b32_e64 v23, 0x7c00, v25, s0
	v_cmp_gt_i32_e64 s0, 1, v15
	v_and_or_b32 v4, 0x1ff, v5, v4
	v_bfe_u32 v25, v5, 20, 11
	v_cndmask_b32_e64 v22, v24, v22, s0
	v_cmp_eq_u32_e64 s0, 0x40f, v21
	v_mul_f64 v[11:12], v[11:12], s[4:5]
	v_lshrrev_b32_e32 v24, 8, v5
	v_lshrrev_b32_e32 v5, 16, v5
	v_cndmask_b32_e64 v21, v23, v0, s0
	v_lshrrev_b32_e32 v23, 16, v1
	v_cvt_f64_f32_e32 v[0:1], v13
	v_cmp_ne_u32_e64 s0, 0, v4
	v_and_b32_e32 v13, 7, v22
	v_and_or_b32 v21, 0x8000, v23, v21
	v_sub_nc_u32_e32 v23, 0x3f1, v25
	v_cndmask_b32_e64 v4, 0, 1, s0
	v_cmp_lt_i32_e64 s0, 5, v13
	v_cmp_eq_u32_e64 s1, 3, v13
	v_lshrrev_b32_e32 v13, 2, v22
	v_lshl_or_b32 v6, v21, 16, v6
	v_and_or_b32 v4, 0xffe, v24, v4
	v_med3_i32 v22, v23, 0, 13
	s_or_b32 s0, s1, s0
	v_add_co_ci_u32_e64 v13, s0, 0, v13, s0
	v_or_b32_e32 v21, 0x1000, v4
	v_cmp_ne_u32_e64 s0, 0, v2
	v_and_or_b32 v11, 0x1ff, v12, v11
	v_lshrrev_b32_e32 v24, 8, v12
	v_bfe_u32 v26, v12, 20, 11
	v_lshrrev_b32_e32 v23, v22, v21
	v_cndmask_b32_e64 v2, 0, 1, s0
	v_cmp_gt_i32_e64 s0, 31, v15
	v_mul_f64 v[0:1], v[0:1], s[4:5]
	v_lshrrev_b32_e32 v12, 16, v12
	v_lshlrev_b32_e32 v22, v22, v23
	v_lshl_or_b32 v2, v2, 9, 0x7c00
	v_cndmask_b32_e64 v13, 0x7c00, v13, s0
	v_cmp_ne_u32_e64 s0, 0, v11
	v_cndmask_b32_e64 v11, 0, 1, s0
	v_cmp_ne_u32_e64 s0, v22, v21
	v_add_nc_u32_e32 v22, 0xfffffc10, v25
	v_and_or_b32 v11, 0xffe, v24, v11
	v_cndmask_b32_e64 v21, 0, 1, s0
	v_sub_nc_u32_e32 v24, 0x3f1, v26
	v_cmp_eq_u32_e64 s0, 0x40f, v15
	v_lshl_or_b32 v15, v22, 12, v4
	v_and_or_b32 v0, 0x1ff, v1, v0
	v_cndmask_b32_e64 v2, v13, v2, s0
	v_or_b32_e32 v13, v23, v21
	v_or_b32_e32 v21, 0x1000, v11
	v_med3_i32 v23, v24, 0, 13
	v_cmp_gt_i32_e64 s0, 1, v22
	v_lshrrev_b32_e32 v24, 8, v1
	v_bfe_u32 v25, v1, 20, 11
	v_and_or_b32 v2, 0x8000, v3, v2
	v_lshrrev_b32_e32 v1, 16, v1
	v_cndmask_b32_e64 v13, v15, v13, s0
	v_lshrrev_b32_e32 v15, v23, v21
	v_cmp_ne_u32_e64 s0, 0, v0
	v_sub_nc_u32_e32 v3, 0x3f1, v25
	v_and_b32_e32 v27, 7, v13
	v_lshlrev_b32_e32 v23, v23, v15
	v_cndmask_b32_e64 v0, 0, 1, s0
	v_lshrrev_b32_e32 v13, 2, v13
	v_med3_i32 v3, v3, 0, 13
	v_cmp_lt_i32_e64 s0, 5, v27
	v_cmp_ne_u32_e64 s1, v23, v21
	v_and_or_b32 v0, 0xffe, v24, v0
	v_add_nc_u32_e32 v24, 0xfffffc10, v26
	v_cndmask_b32_e64 v21, 0, 1, s1
	v_cmp_eq_u32_e64 s1, 3, v27
	v_or_b32_e32 v23, 0x1000, v0
	v_lshl_or_b32 v26, v24, 12, v11
	v_or_b32_e32 v15, v15, v21
	s_or_b32 s0, s1, s0
	v_lshrrev_b32_e32 v21, v3, v23
	v_add_co_ci_u32_e64 v13, s0, 0, v13, s0
	v_cmp_gt_i32_e64 s0, 1, v24
	v_lshlrev_b32_e32 v3, v3, v21
	v_cndmask_b32_e64 v15, v26, v15, s0
	v_cmp_ne_u32_e64 s0, 0, v4
	v_cndmask_b32_e64 v4, 0, 1, s0
	v_cmp_ne_u32_e64 s0, v3, v23
	v_add_nc_u32_e32 v23, 0xfffffc10, v25
	v_and_b32_e32 v25, 7, v15
	v_lshl_or_b32 v4, v4, 9, 0x7c00
	v_cndmask_b32_e64 v3, 0, 1, s0
	v_cmp_gt_i32_e64 s0, 31, v22
	v_cmp_gt_i32_e64 s2, 1, v23
	v_cmp_eq_u32_e64 s1, 3, v25
	v_or_b32_e32 v3, v21, v3
	v_lshl_or_b32 v21, v23, 12, v0
	v_cndmask_b32_e64 v13, 0x7c00, v13, s0
	v_cmp_lt_i32_e64 s0, 5, v25
	v_cndmask_b32_e64 v3, v21, v3, s2
	v_cmp_eq_u32_e64 s2, 0x40f, v22
	s_or_b32 s0, s1, s0
	v_cndmask_b32_e64 v4, v13, v4, s2
	v_lshrrev_b32_e32 v13, 2, v15
	v_and_b32_e32 v15, 7, v3
	v_lshrrev_b32_e32 v3, 2, v3
	v_cmp_gt_i32_e64 s2, 31, v24
	v_and_or_b32 v4, 0x8000, v5, v4
	v_add_co_ci_u32_e64 v13, s0, 0, v13, s0
	v_cmp_ne_u32_e64 s0, 0, v11
	v_cmp_eq_u32_e64 s1, 3, v15
	v_and_b32_e32 v5, 0xffff, v2
	v_cndmask_b32_e64 v13, 0x7c00, v13, s2
	v_cndmask_b32_e64 v11, 0, 1, s0
	v_cmp_lt_i32_e64 s0, 5, v15
	v_lshl_or_b32 v11, v11, 9, 0x7c00
	s_or_b32 s0, s1, s0
	v_add_co_ci_u32_e64 v3, s0, 0, v3, s0
	v_cmp_ne_u32_e64 s0, 0, v0
	v_cndmask_b32_e64 v0, 0, 1, s0
	v_cmp_eq_u32_e64 s0, 0x40f, v24
	v_lshl_or_b32 v0, v0, 9, 0x7c00
	v_cndmask_b32_e64 v11, v13, v11, s0
	v_cmp_gt_i32_e64 s0, 31, v23
	v_and_or_b32 v11, 0x8000, v12, v11
	v_cndmask_b32_e64 v3, 0x7c00, v3, s0
	v_cmp_eq_u32_e64 s0, 0x40f, v23
	v_lshl_or_b32 v12, v4, 16, v5
	v_cndmask_b32_e64 v0, v3, v0, s0
	v_add_co_u32 v2, s0, v9, s6
	v_add_co_ci_u32_e64 v3, s0, s7, v10, s0
	v_and_or_b32 v0, 0x8000, v1, v0
	v_and_b32_e32 v1, 0xffff, v11
	v_add_co_u32 v4, s0, v2, s12
	v_add_co_ci_u32_e64 v5, s0, s13, v3, s0
	v_lshl_or_b32 v11, v0, 16, v1
	v_add_co_u32 v0, s0, v4, s12
	v_add_co_ci_u32_e64 v1, s0, s13, v5, s0
	global_store_dword v[7:8], v14, off
	global_store_dword v[9:10], v20, off
	;; [unrolled: 1-line block ×5, first 2 shown]
	s_and_b32 exec_lo, exec_lo, vcc_lo
	s_cbranch_execz .LBB0_31
; %bb.30:
	s_clause 0x2
	global_load_dword v4, v[16:17], off offset:756
	global_load_dword v5, v[16:17], off offset:1596
	;; [unrolled: 1-line block ×3, first 2 shown]
	v_add_nc_u32_e32 v2, 0x280, v47
	v_add_co_u32 v0, vcc_lo, v0, s6
	v_add_co_ci_u32_e32 v1, vcc_lo, s7, v1, vcc_lo
	ds_read2_b32 v[2:3], v2 offset0:29 offset1:239
	ds_read_b32 v7, v47 offset:2436
	v_add_co_u32 v14, vcc_lo, v0, s12
	v_add_co_ci_u32_e32 v15, vcc_lo, s13, v1, vcc_lo
	s_waitcnt lgkmcnt(1)
	v_lshrrev_b32_e32 v8, 16, v2
	v_lshrrev_b32_e32 v10, 16, v3
	s_waitcnt lgkmcnt(0)
	v_lshrrev_b32_e32 v12, 16, v7
	s_waitcnt vmcnt(2)
	v_mul_f16_sdwa v9, v8, v4 dst_sel:DWORD dst_unused:UNUSED_PAD src0_sel:DWORD src1_sel:WORD_1
	v_mul_f16_sdwa v11, v2, v4 dst_sel:DWORD dst_unused:UNUSED_PAD src0_sel:DWORD src1_sel:WORD_1
	s_waitcnt vmcnt(1)
	v_mul_f16_sdwa v13, v10, v5 dst_sel:DWORD dst_unused:UNUSED_PAD src0_sel:DWORD src1_sel:WORD_1
	v_fmac_f16_e32 v9, v2, v4
	v_fma_f16 v2, v4, v8, -v11
	v_mul_f16_sdwa v8, v3, v5 dst_sel:DWORD dst_unused:UNUSED_PAD src0_sel:DWORD src1_sel:WORD_1
	v_fmac_f16_e32 v13, v3, v5
	v_cvt_f32_f16_e32 v4, v9
	v_cvt_f32_f16_e32 v11, v2
	s_waitcnt vmcnt(0)
	v_mul_f16_sdwa v9, v12, v6 dst_sel:DWORD dst_unused:UNUSED_PAD src0_sel:DWORD src1_sel:WORD_1
	v_fma_f16 v8, v5, v10, -v8
	v_mul_f16_sdwa v10, v7, v6 dst_sel:DWORD dst_unused:UNUSED_PAD src0_sel:DWORD src1_sel:WORD_1
	v_cvt_f64_f32_e32 v[2:3], v4
	v_cvt_f32_f16_e32 v13, v13
	v_cvt_f64_f32_e32 v[4:5], v11
	v_fmac_f16_e32 v9, v7, v6
	v_cvt_f32_f16_e32 v8, v8
	v_fma_f16 v10, v6, v12, -v10
	v_cvt_f64_f32_e32 v[6:7], v13
	v_cvt_f32_f16_e32 v11, v9
	v_cvt_f64_f32_e32 v[8:9], v8
	v_cvt_f32_f16_e32 v12, v10
	v_cvt_f64_f32_e32 v[10:11], v11
	v_cvt_f64_f32_e32 v[12:13], v12
	v_mul_f64 v[2:3], v[2:3], s[4:5]
	v_mul_f64 v[4:5], v[4:5], s[4:5]
	;; [unrolled: 1-line block ×6, first 2 shown]
	v_and_or_b32 v2, 0x1ff, v3, v2
	v_lshrrev_b32_e32 v16, 8, v3
	v_and_or_b32 v4, 0x1ff, v5, v4
	v_bfe_u32 v17, v3, 20, 11
	v_lshrrev_b32_e32 v18, 8, v5
	v_cmp_ne_u32_e32 vcc_lo, 0, v2
	v_and_or_b32 v6, 0x1ff, v7, v6
	v_bfe_u32 v19, v5, 20, 11
	v_lshrrev_b32_e32 v20, 8, v7
	v_and_or_b32 v8, 0x1ff, v9, v8
	v_cndmask_b32_e64 v2, 0, 1, vcc_lo
	v_cmp_ne_u32_e32 vcc_lo, 0, v4
	v_bfe_u32 v21, v7, 20, 11
	v_and_or_b32 v10, 0x1ff, v11, v10
	v_bfe_u32 v23, v9, 20, 11
	v_and_or_b32 v12, 0x1ff, v13, v12
	v_cndmask_b32_e64 v4, 0, 1, vcc_lo
	v_cmp_ne_u32_e32 vcc_lo, 0, v6
	v_and_or_b32 v2, 0xffe, v16, v2
	v_sub_nc_u32_e32 v28, 0x3f1, v17
	v_add_nc_u32_e32 v17, 0xfffffc10, v17
	v_sub_nc_u32_e32 v29, 0x3f1, v19
	v_cndmask_b32_e64 v6, 0, 1, vcc_lo
	v_cmp_ne_u32_e32 vcc_lo, 0, v8
	v_and_or_b32 v4, 0xffe, v18, v4
	v_lshrrev_b32_e32 v22, 8, v9
	v_bfe_u32 v25, v11, 20, 11
	v_bfe_u32 v27, v13, 20, 11
	v_cndmask_b32_e64 v8, 0, 1, vcc_lo
	v_cmp_ne_u32_e32 vcc_lo, 0, v10
	v_add_nc_u32_e32 v19, 0xfffffc10, v19
	v_sub_nc_u32_e32 v30, 0x3f1, v21
	v_sub_nc_u32_e32 v31, 0x3f1, v23
	v_med3_i32 v16, v28, 0, 13
	v_cndmask_b32_e64 v10, 0, 1, vcc_lo
	v_cmp_ne_u32_e32 vcc_lo, 0, v12
	v_med3_i32 v18, v29, 0, 13
	v_and_or_b32 v6, 0xffe, v20, v6
	v_or_b32_e32 v28, 0x1000, v2
	v_lshl_or_b32 v29, v17, 12, v2
	v_cndmask_b32_e64 v12, 0, 1, vcc_lo
	v_cmp_ne_u32_e32 vcc_lo, 0, v2
	v_lshrrev_b32_e32 v24, 8, v11
	v_lshrrev_b32_e32 v26, 8, v13
	v_add_nc_u32_e32 v21, 0xfffffc10, v21
	v_sub_nc_u32_e32 v32, 0x3f1, v25
	v_cndmask_b32_e64 v2, 0, 1, vcc_lo
	v_cmp_ne_u32_e32 vcc_lo, 0, v4
	v_sub_nc_u32_e32 v33, 0x3f1, v27
	v_med3_i32 v20, v30, 0, 13
	v_and_or_b32 v8, 0xffe, v22, v8
	v_med3_i32 v22, v31, 0, 13
	v_or_b32_e32 v30, 0x1000, v4
	v_lshl_or_b32 v31, v19, 12, v4
	v_cndmask_b32_e64 v4, 0, 1, vcc_lo
	v_cmp_ne_u32_e32 vcc_lo, 0, v6
	v_add_nc_u32_e32 v23, 0xfffffc10, v23
	v_and_or_b32 v10, 0xffe, v24, v10
	v_med3_i32 v24, v32, 0, 13
	v_and_or_b32 v12, 0xffe, v26, v12
	v_med3_i32 v26, v33, 0, 13
	v_or_b32_e32 v32, 0x1000, v6
	v_lshl_or_b32 v33, v21, 12, v6
	v_cndmask_b32_e64 v6, 0, 1, vcc_lo
	v_cmp_ne_u32_e32 vcc_lo, 0, v8
	v_add_nc_u32_e32 v25, 0xfffffc10, v25
	v_or_b32_e32 v34, 0x1000, v8
	v_lshl_or_b32 v35, v23, 12, v8
	v_lshrrev_b32_e32 v40, v16, v28
	v_cndmask_b32_e64 v8, 0, 1, vcc_lo
	v_cmp_ne_u32_e32 vcc_lo, 0, v10
	v_add_nc_u32_e32 v27, 0xfffffc10, v27
	v_or_b32_e32 v36, 0x1000, v10
	v_lshl_or_b32 v37, v25, 12, v10
	v_lshrrev_b32_e32 v41, v18, v30
	v_cndmask_b32_e64 v10, 0, 1, vcc_lo
	v_cmp_ne_u32_e32 vcc_lo, 0, v12
	v_lshlrev_b32_e32 v16, v16, v40
	v_or_b32_e32 v38, 0x1000, v12
	v_lshl_or_b32 v39, v27, 12, v12
	v_lshrrev_b32_e32 v42, v20, v32
	v_cndmask_b32_e64 v12, 0, 1, vcc_lo
	v_lshlrev_b32_e32 v18, v18, v41
	v_cmp_ne_u32_e32 vcc_lo, v16, v28
	v_lshrrev_b32_e32 v43, v22, v34
	v_lshlrev_b32_e32 v20, v20, v42
	v_lshrrev_b32_e32 v44, v24, v36
	v_lshrrev_b32_e32 v45, v26, v38
	v_cndmask_b32_e64 v16, 0, 1, vcc_lo
	v_cmp_ne_u32_e32 vcc_lo, v18, v30
	v_lshlrev_b32_e32 v22, v22, v43
	v_lshlrev_b32_e32 v24, v24, v44
	;; [unrolled: 1-line block ×3, first 2 shown]
	v_or_b32_e32 v16, v40, v16
	v_cndmask_b32_e64 v18, 0, 1, vcc_lo
	v_cmp_ne_u32_e32 vcc_lo, v20, v32
	v_lshl_or_b32 v2, v2, 9, 0x7c00
	v_lshl_or_b32 v4, v4, 9, 0x7c00
	;; [unrolled: 1-line block ×3, first 2 shown]
	v_or_b32_e32 v18, v41, v18
	v_cndmask_b32_e64 v20, 0, 1, vcc_lo
	v_cmp_ne_u32_e32 vcc_lo, v22, v34
	v_lshl_or_b32 v8, v8, 9, 0x7c00
	v_lshl_or_b32 v10, v10, 9, 0x7c00
	v_lshrrev_b32_e32 v3, 16, v3
	v_or_b32_e32 v20, v42, v20
	v_cndmask_b32_e64 v22, 0, 1, vcc_lo
	v_cmp_ne_u32_e32 vcc_lo, v24, v36
	v_lshrrev_b32_e32 v7, 16, v7
	v_lshrrev_b32_e32 v5, 16, v5
	v_lshrrev_b32_e32 v11, 16, v11
	v_or_b32_e32 v22, v43, v22
	v_cndmask_b32_e64 v24, 0, 1, vcc_lo
	v_cmp_ne_u32_e32 vcc_lo, v26, v38
	v_lshl_or_b32 v12, v12, 9, 0x7c00
	v_lshrrev_b32_e32 v9, 16, v9
	v_lshrrev_b32_e32 v13, 16, v13
	v_or_b32_e32 v24, v44, v24
	v_cndmask_b32_e64 v26, 0, 1, vcc_lo
	v_cmp_gt_i32_e32 vcc_lo, 1, v17
	v_or_b32_e32 v26, v45, v26
	v_cndmask_b32_e32 v16, v29, v16, vcc_lo
	v_cmp_gt_i32_e32 vcc_lo, 1, v19
	v_and_b32_e32 v28, 7, v16
	v_cndmask_b32_e32 v18, v31, v18, vcc_lo
	v_cmp_gt_i32_e32 vcc_lo, 1, v21
	v_lshrrev_b32_e32 v16, 2, v16
	v_cmp_eq_u32_e64 s0, 3, v28
	v_and_b32_e32 v29, 7, v18
	v_cndmask_b32_e32 v20, v33, v20, vcc_lo
	v_cmp_gt_i32_e32 vcc_lo, 1, v23
	v_lshrrev_b32_e32 v18, 2, v18
	v_cmp_lt_i32_e64 s1, 5, v29
	v_and_b32_e32 v30, 7, v20
	v_cndmask_b32_e32 v22, v35, v22, vcc_lo
	v_cmp_gt_i32_e32 vcc_lo, 1, v25
	v_cmp_eq_u32_e64 s2, 3, v29
	v_lshrrev_b32_e32 v20, 2, v20
	v_cmp_lt_i32_e64 s3, 5, v30
	v_and_b32_e32 v31, 7, v22
	v_cndmask_b32_e32 v24, v37, v24, vcc_lo
	v_cmp_gt_i32_e32 vcc_lo, 1, v27
	v_cmp_eq_u32_e64 s4, 3, v30
	v_lshrrev_b32_e32 v22, 2, v22
	v_cmp_lt_i32_e64 s5, 5, v31
	v_and_b32_e32 v32, 7, v24
	v_cndmask_b32_e32 v26, v39, v26, vcc_lo
	v_cmp_lt_i32_e32 vcc_lo, 5, v28
	v_cmp_eq_u32_e64 s6, 3, v31
	v_lshrrev_b32_e32 v24, 2, v24
	v_cmp_lt_i32_e64 s7, 5, v32
	v_and_b32_e32 v33, 7, v26
	s_or_b32 vcc_lo, s0, vcc_lo
	v_cmp_eq_u32_e64 s8, 3, v32
	v_add_co_ci_u32_e32 v16, vcc_lo, 0, v16, vcc_lo
	s_or_b32 vcc_lo, s2, s1
	v_cmp_lt_i32_e64 s9, 5, v33
	v_add_co_ci_u32_e32 v18, vcc_lo, 0, v18, vcc_lo
	s_or_b32 vcc_lo, s4, s3
	v_cmp_eq_u32_e64 s10, 3, v33
	v_add_co_ci_u32_e32 v20, vcc_lo, 0, v20, vcc_lo
	s_or_b32 vcc_lo, s6, s5
	v_lshrrev_b32_e32 v26, 2, v26
	v_add_co_ci_u32_e32 v22, vcc_lo, 0, v22, vcc_lo
	s_or_b32 vcc_lo, s8, s7
	v_add_co_ci_u32_e32 v24, vcc_lo, 0, v24, vcc_lo
	s_or_b32 vcc_lo, s10, s9
	v_add_co_ci_u32_e32 v26, vcc_lo, 0, v26, vcc_lo
	v_cmp_gt_i32_e32 vcc_lo, 31, v17
	v_cndmask_b32_e32 v16, 0x7c00, v16, vcc_lo
	v_cmp_gt_i32_e32 vcc_lo, 31, v19
	v_cndmask_b32_e32 v18, 0x7c00, v18, vcc_lo
	v_cmp_gt_i32_e32 vcc_lo, 31, v21
	v_cndmask_b32_e32 v20, 0x7c00, v20, vcc_lo
	v_cmp_gt_i32_e32 vcc_lo, 31, v23
	v_cndmask_b32_e32 v22, 0x7c00, v22, vcc_lo
	v_cmp_gt_i32_e32 vcc_lo, 31, v25
	v_cndmask_b32_e32 v24, 0x7c00, v24, vcc_lo
	v_cmp_gt_i32_e32 vcc_lo, 31, v27
	v_cndmask_b32_e32 v26, 0x7c00, v26, vcc_lo
	v_cmp_eq_u32_e32 vcc_lo, 0x40f, v17
	v_cndmask_b32_e32 v2, v16, v2, vcc_lo
	v_cmp_eq_u32_e32 vcc_lo, 0x40f, v19
	v_and_or_b32 v2, 0x8000, v3, v2
	v_cndmask_b32_e32 v4, v18, v4, vcc_lo
	v_cmp_eq_u32_e32 vcc_lo, 0x40f, v21
	v_and_or_b32 v4, 0x8000, v5, v4
	;; [unrolled: 3-line block ×4, first 2 shown]
	v_cndmask_b32_e32 v10, v24, v10, vcc_lo
	v_cmp_eq_u32_e32 vcc_lo, 0x40f, v27
	v_and_b32_e32 v8, 0xffff, v2
	v_and_b32_e32 v9, 0xffff, v3
	v_and_or_b32 v5, 0x8000, v11, v10
	v_cndmask_b32_e32 v12, v26, v12, vcc_lo
	v_add_co_u32 v2, vcc_lo, v14, s12
	v_lshl_or_b32 v4, v4, 16, v8
	v_and_b32_e32 v5, 0xffff, v5
	v_and_or_b32 v7, 0x8000, v13, v12
	v_lshl_or_b32 v6, v6, 16, v9
	v_add_co_ci_u32_e32 v3, vcc_lo, s13, v15, vcc_lo
	v_lshl_or_b32 v5, v7, 16, v5
	global_store_dword v[0:1], v4, off
	global_store_dword v[14:15], v6, off
	global_store_dword v[2:3], v5, off
.LBB0_31:
	s_endpgm
	.section	.rodata,"a",@progbits
	.p2align	6, 0x0
	.amdhsa_kernel bluestein_single_back_len630_dim1_half_op_CI_CI
		.amdhsa_group_segment_fixed_size 2520
		.amdhsa_private_segment_fixed_size 0
		.amdhsa_kernarg_size 104
		.amdhsa_user_sgpr_count 6
		.amdhsa_user_sgpr_private_segment_buffer 1
		.amdhsa_user_sgpr_dispatch_ptr 0
		.amdhsa_user_sgpr_queue_ptr 0
		.amdhsa_user_sgpr_kernarg_segment_ptr 1
		.amdhsa_user_sgpr_dispatch_id 0
		.amdhsa_user_sgpr_flat_scratch_init 0
		.amdhsa_user_sgpr_private_segment_size 0
		.amdhsa_wavefront_size32 1
		.amdhsa_uses_dynamic_stack 0
		.amdhsa_system_sgpr_private_segment_wavefront_offset 0
		.amdhsa_system_sgpr_workgroup_id_x 1
		.amdhsa_system_sgpr_workgroup_id_y 0
		.amdhsa_system_sgpr_workgroup_id_z 0
		.amdhsa_system_sgpr_workgroup_info 0
		.amdhsa_system_vgpr_workitem_id 0
		.amdhsa_next_free_vgpr 104
		.amdhsa_next_free_sgpr 16
		.amdhsa_reserve_vcc 1
		.amdhsa_reserve_flat_scratch 0
		.amdhsa_float_round_mode_32 0
		.amdhsa_float_round_mode_16_64 0
		.amdhsa_float_denorm_mode_32 3
		.amdhsa_float_denorm_mode_16_64 3
		.amdhsa_dx10_clamp 1
		.amdhsa_ieee_mode 1
		.amdhsa_fp16_overflow 0
		.amdhsa_workgroup_processor_mode 1
		.amdhsa_memory_ordered 1
		.amdhsa_forward_progress 0
		.amdhsa_shared_vgpr_count 0
		.amdhsa_exception_fp_ieee_invalid_op 0
		.amdhsa_exception_fp_denorm_src 0
		.amdhsa_exception_fp_ieee_div_zero 0
		.amdhsa_exception_fp_ieee_overflow 0
		.amdhsa_exception_fp_ieee_underflow 0
		.amdhsa_exception_fp_ieee_inexact 0
		.amdhsa_exception_int_div_zero 0
	.end_amdhsa_kernel
	.text
.Lfunc_end0:
	.size	bluestein_single_back_len630_dim1_half_op_CI_CI, .Lfunc_end0-bluestein_single_back_len630_dim1_half_op_CI_CI
                                        ; -- End function
	.section	.AMDGPU.csdata,"",@progbits
; Kernel info:
; codeLenInByte = 20176
; NumSgprs: 18
; NumVgprs: 104
; ScratchSize: 0
; MemoryBound: 0
; FloatMode: 240
; IeeeMode: 1
; LDSByteSize: 2520 bytes/workgroup (compile time only)
; SGPRBlocks: 2
; VGPRBlocks: 12
; NumSGPRsForWavesPerEU: 18
; NumVGPRsForWavesPerEU: 104
; Occupancy: 9
; WaveLimiterHint : 1
; COMPUTE_PGM_RSRC2:SCRATCH_EN: 0
; COMPUTE_PGM_RSRC2:USER_SGPR: 6
; COMPUTE_PGM_RSRC2:TRAP_HANDLER: 0
; COMPUTE_PGM_RSRC2:TGID_X_EN: 1
; COMPUTE_PGM_RSRC2:TGID_Y_EN: 0
; COMPUTE_PGM_RSRC2:TGID_Z_EN: 0
; COMPUTE_PGM_RSRC2:TIDIG_COMP_CNT: 0
	.text
	.p2alignl 6, 3214868480
	.fill 48, 4, 3214868480
	.type	__hip_cuid_117407f8ddaa49e9,@object ; @__hip_cuid_117407f8ddaa49e9
	.section	.bss,"aw",@nobits
	.globl	__hip_cuid_117407f8ddaa49e9
__hip_cuid_117407f8ddaa49e9:
	.byte	0                               ; 0x0
	.size	__hip_cuid_117407f8ddaa49e9, 1

	.ident	"AMD clang version 19.0.0git (https://github.com/RadeonOpenCompute/llvm-project roc-6.4.0 25133 c7fe45cf4b819c5991fe208aaa96edf142730f1d)"
	.section	".note.GNU-stack","",@progbits
	.addrsig
	.addrsig_sym __hip_cuid_117407f8ddaa49e9
	.amdgpu_metadata
---
amdhsa.kernels:
  - .args:
      - .actual_access:  read_only
        .address_space:  global
        .offset:         0
        .size:           8
        .value_kind:     global_buffer
      - .actual_access:  read_only
        .address_space:  global
        .offset:         8
        .size:           8
        .value_kind:     global_buffer
      - .actual_access:  read_only
        .address_space:  global
        .offset:         16
        .size:           8
        .value_kind:     global_buffer
      - .actual_access:  read_only
        .address_space:  global
        .offset:         24
        .size:           8
        .value_kind:     global_buffer
      - .actual_access:  read_only
        .address_space:  global
        .offset:         32
        .size:           8
        .value_kind:     global_buffer
      - .offset:         40
        .size:           8
        .value_kind:     by_value
      - .address_space:  global
        .offset:         48
        .size:           8
        .value_kind:     global_buffer
      - .address_space:  global
        .offset:         56
        .size:           8
        .value_kind:     global_buffer
      - .address_space:  global
        .offset:         64
        .size:           8
        .value_kind:     global_buffer
      - .address_space:  global
        .offset:         72
        .size:           8
        .value_kind:     global_buffer
      - .offset:         80
        .size:           4
        .value_kind:     by_value
      - .address_space:  global
        .offset:         88
        .size:           8
        .value_kind:     global_buffer
      - .address_space:  global
        .offset:         96
        .size:           8
        .value_kind:     global_buffer
    .group_segment_fixed_size: 2520
    .kernarg_segment_align: 8
    .kernarg_segment_size: 104
    .language:       OpenCL C
    .language_version:
      - 2
      - 0
    .max_flat_workgroup_size: 63
    .name:           bluestein_single_back_len630_dim1_half_op_CI_CI
    .private_segment_fixed_size: 0
    .sgpr_count:     18
    .sgpr_spill_count: 0
    .symbol:         bluestein_single_back_len630_dim1_half_op_CI_CI.kd
    .uniform_work_group_size: 1
    .uses_dynamic_stack: false
    .vgpr_count:     104
    .vgpr_spill_count: 0
    .wavefront_size: 32
    .workgroup_processor_mode: 1
amdhsa.target:   amdgcn-amd-amdhsa--gfx1030
amdhsa.version:
  - 1
  - 2
...

	.end_amdgpu_metadata
